;; amdgpu-corpus repo=ROCm/rocFFT kind=compiled arch=gfx906 opt=O3
	.text
	.amdgcn_target "amdgcn-amd-amdhsa--gfx906"
	.amdhsa_code_object_version 6
	.protected	bluestein_single_fwd_len816_dim1_dp_op_CI_CI ; -- Begin function bluestein_single_fwd_len816_dim1_dp_op_CI_CI
	.globl	bluestein_single_fwd_len816_dim1_dp_op_CI_CI
	.p2align	8
	.type	bluestein_single_fwd_len816_dim1_dp_op_CI_CI,@function
bluestein_single_fwd_len816_dim1_dp_op_CI_CI: ; @bluestein_single_fwd_len816_dim1_dp_op_CI_CI
; %bb.0:
	s_mov_b64 s[62:63], s[2:3]
	s_mov_b64 s[60:61], s[0:1]
	s_load_dwordx4 s[0:3], s[4:5], 0x28
	v_mul_u32_u24_e32 v1, 0x506, v0
	v_add_u32_sdwa v228, s6, v1 dst_sel:DWORD dst_unused:UNUSED_PAD src0_sel:DWORD src1_sel:WORD_1
	v_mov_b32_e32 v229, 0
	s_add_u32 s60, s60, s7
	s_waitcnt lgkmcnt(0)
	v_cmp_gt_u64_e32 vcc, s[0:1], v[228:229]
	s_addc_u32 s61, s61, 0
	s_and_saveexec_b64 s[0:1], vcc
	s_cbranch_execz .LBB0_23
; %bb.1:
	s_load_dwordx2 s[12:13], s[4:5], 0x0
	s_load_dwordx2 s[14:15], s[4:5], 0x38
	v_mov_b32_e32 v2, 51
	v_mul_lo_u16_sdwa v1, v1, v2 dst_sel:DWORD dst_unused:UNUSED_PAD src0_sel:WORD_1 src1_sel:DWORD
	v_sub_u16_e32 v254, v0, v1
	v_cmp_gt_u16_e32 vcc, 48, v254
	v_lshlrev_b32_e32 v252, 4, v254
	s_and_saveexec_b64 s[6:7], vcc
	s_cbranch_execz .LBB0_3
; %bb.2:
	s_load_dwordx2 s[0:1], s[4:5], 0x18
	v_or_b32_e32 v17, 0xc0, v254
	v_or_b32_e32 v125, 0x300, v254
	v_lshlrev_b32_e32 v56, 4, v125
	s_movk_i32 s16, 0x1000
	s_waitcnt lgkmcnt(0)
	s_load_dwordx4 s[8:11], s[0:1], 0x0
	v_or_b32_e32 v74, 0x180, v254
	v_or_b32_e32 v103, 0x240, v254
	s_waitcnt lgkmcnt(0)
	v_mad_u64_u32 v[0:1], s[0:1], s10, v228, 0
	v_mad_u64_u32 v[2:3], s[0:1], s8, v254, 0
	s_mul_hi_u32 s10, s8, 0x600
	v_mad_u64_u32 v[4:5], s[0:1], s11, v228, v[1:2]
	s_mul_i32 s11, s8, 0x600
	v_mad_u64_u32 v[5:6], s[0:1], s9, v254, v[3:4]
	v_mov_b32_e32 v1, v4
	v_lshlrev_b64 v[0:1], 4, v[0:1]
	v_mov_b32_e32 v3, v5
	v_mov_b32_e32 v6, s3
	v_lshlrev_b64 v[2:3], 4, v[2:3]
	v_add_co_u32_e64 v32, s[0:1], s2, v0
	v_addc_co_u32_e64 v33, s[0:1], v6, v1, s[0:1]
	v_add_co_u32_e64 v8, s[0:1], v32, v2
	v_addc_co_u32_e64 v9, s[0:1], v33, v3, s[0:1]
	s_mul_i32 s0, s9, 0x300
	s_mul_hi_u32 s3, s8, 0x300
	s_add_i32 s3, s3, s0
	s_mul_i32 s2, s8, 0x300
	v_mov_b32_e32 v0, s3
	v_add_co_u32_e64 v10, s[0:1], s2, v8
	v_addc_co_u32_e64 v11, s[0:1], v9, v0, s[0:1]
	global_load_dwordx4 v[4:7], v[8:9], off
	global_load_dwordx4 v[0:3], v[10:11], off
	v_mov_b32_e32 v8, s3
	v_add_co_u32_e64 v24, s[0:1], s2, v10
	v_addc_co_u32_e64 v25, s[0:1], v11, v8, s[0:1]
	v_mad_u64_u32 v[26:27], s[0:1], s8, v17, 0
	v_mov_b32_e32 v18, s3
	global_load_dwordx4 v[12:15], v252, s[12:13] offset:768
	global_load_dwordx4 v[8:11], v252, s[12:13] offset:1536
	v_mov_b32_e32 v16, v27
	v_mad_u64_u32 v[27:28], s[0:1], s9, v17, v[16:17]
	v_add_co_u32_e64 v34, s[0:1], s2, v24
	v_addc_co_u32_e64 v35, s[0:1], v25, v18, s[0:1]
	global_load_dwordx4 v[20:23], v[24:25], off
	global_load_dwordx4 v[16:19], v[34:35], off
	v_lshlrev_b64 v[24:25], 4, v[26:27]
	v_mov_b32_e32 v60, s3
	v_add_co_u32_e64 v46, s[0:1], v32, v24
	v_addc_co_u32_e64 v47, s[0:1], v33, v25, s[0:1]
	s_mul_i32 s0, s9, 0x600
	s_add_i32 s10, s10, s0
	v_mov_b32_e32 v36, s10
	v_add_co_u32_e64 v54, s[0:1], s11, v34
	v_addc_co_u32_e64 v55, s[0:1], v35, v36, s[0:1]
	global_load_dwordx4 v[24:27], v252, s[12:13] offset:2304
	global_load_dwordx4 v[28:31], v252, s[12:13] offset:3072
	;; [unrolled: 1-line block ×3, first 2 shown]
	global_load_dwordx4 v[38:41], v[46:47], off
	global_load_dwordx4 v[42:45], v[54:55], off
	v_mov_b32_e32 v46, s13
	v_add_co_u32_e64 v101, s[0:1], s12, v252
	v_addc_co_u32_e64 v102, s[0:1], 0, v46, s[0:1]
	global_load_dwordx4 v[46:49], v252, s[12:13]
	global_load_dwordx4 v[50:53], v56, s[12:13]
	v_mov_b32_e32 v56, s3
	v_add_co_u32_e64 v58, s[0:1], s2, v54
	v_addc_co_u32_e64 v59, s[0:1], v55, v56, s[0:1]
	v_add_co_u32_e64 v94, s[0:1], s16, v101
	v_addc_co_u32_e64 v95, s[0:1], 0, v102, s[0:1]
	v_mad_u64_u32 v[70:71], s[0:1], s8, v74, 0
	global_load_dwordx4 v[54:57], v[58:59], off
	v_add_co_u32_e64 v78, s[0:1], s2, v58
	v_mov_b32_e32 v58, v71
	v_addc_co_u32_e64 v79, s[0:1], v59, v60, s[0:1]
	v_mad_u64_u32 v[71:72], s[0:1], s9, v74, v[58:59]
	v_mov_b32_e32 v80, s10
	v_mov_b32_e32 v84, s3
	v_lshlrev_b64 v[70:71], 4, v[70:71]
	v_lshlrev_b32_e32 v74, 4, v74
	v_add_co_u32_e64 v70, s[0:1], v32, v70
	v_addc_co_u32_e64 v71, s[0:1], v33, v71, s[0:1]
	v_add_co_u32_e64 v82, s[0:1], s11, v78
	v_addc_co_u32_e64 v83, s[0:1], v79, v80, s[0:1]
	;; [unrolled: 2-line block ×3, first 2 shown]
	v_mad_u64_u32 v[98:99], s[0:1], s8, v103, 0
	global_load_dwordx4 v[58:61], v[78:79], off
	global_load_dwordx4 v[62:65], v[94:95], off offset:512
	global_load_dwordx4 v[66:69], v[94:95], off offset:1280
	v_add_co_u32_e64 v106, s[0:1], s2, v96
	global_load_dwordx4 v[70:73], v[70:71], off
	s_movk_i32 s16, 0x2000
	global_load_dwordx4 v[74:77], v74, s[12:13]
	v_mov_b32_e32 v108, s10
	global_load_dwordx4 v[78:81], v[82:83], off
	s_nop 0
	global_load_dwordx4 v[82:85], v[96:97], off
	global_load_dwordx4 v[86:89], v[94:95], off offset:2816
	global_load_dwordx4 v[90:93], v[94:95], off offset:3584
	v_mov_b32_e32 v94, s3
	v_addc_co_u32_e64 v107, s[0:1], v97, v94, s[0:1]
	v_mad_u64_u32 v[99:100], s[0:1], s9, v103, v[99:100]
	v_add_co_u32_e64 v130, s[0:1], s16, v101
	v_lshlrev_b64 v[98:99], 4, v[98:99]
	v_addc_co_u32_e64 v131, s[0:1], 0, v102, s[0:1]
	v_add_co_u32_e64 v98, s[0:1], v32, v98
	v_addc_co_u32_e64 v99, s[0:1], v33, v99, s[0:1]
	v_add_co_u32_e64 v118, s[0:1], s11, v106
	v_addc_co_u32_e64 v119, s[0:1], v107, v108, s[0:1]
	v_mov_b32_e32 v120, s3
	v_add_co_u32_e64 v122, s[0:1], s2, v118
	v_addc_co_u32_e64 v123, s[0:1], v119, v120, s[0:1]
	v_mad_u64_u32 v[134:135], s[0:1], s8, v125, 0
	v_lshlrev_b32_e32 v102, 4, v103
	global_load_dwordx4 v[94:97], v[106:107], off
	v_mov_b32_e32 v124, s3
	global_load_dwordx4 v[98:101], v[98:99], off
	s_waitcnt vmcnt(22)
	v_mul_f64 v[140:141], v[2:3], v[14:15]
	global_load_dwordx4 v[102:105], v102, s[12:13]
	s_nop 0
	global_load_dwordx4 v[106:109], v[118:119], off
	global_load_dwordx4 v[110:113], v[130:131], off offset:256
	global_load_dwordx4 v[114:117], v[130:131], off offset:1792
	v_mul_f64 v[14:15], v[0:1], v[14:15]
	global_load_dwordx4 v[118:121], v[122:123], off
	v_add_co_u32_e64 v122, s[0:1], s2, v122
	v_addc_co_u32_e64 v123, s[0:1], v123, v124, s[0:1]
	v_mov_b32_e32 v124, v135
	v_mad_u64_u32 v[135:136], s[0:1], s9, v125, v[124:125]
	global_load_dwordx4 v[122:125], v[122:123], off
	s_nop 0
	global_load_dwordx4 v[126:129], v[130:131], off offset:2560
	s_nop 0
	global_load_dwordx4 v[130:133], v[130:131], off offset:3328
	s_waitcnt vmcnt(28)
	v_mul_f64 v[142:143], v[22:23], v[10:11]
	v_lshlrev_b64 v[134:135], 4, v[134:135]
	v_mul_f64 v[144:145], v[20:21], v[10:11]
	v_add_co_u32_e64 v32, s[0:1], v32, v134
	v_addc_co_u32_e64 v33, s[0:1], v33, v135, s[0:1]
	global_load_dwordx4 v[134:137], v[32:33], off
	s_waitcnt vmcnt(27)
	v_mul_f64 v[146:147], v[18:19], v[26:27]
	v_mul_f64 v[148:149], v[16:17], v[26:27]
	s_waitcnt vmcnt(22)
	v_mul_f64 v[32:33], v[6:7], v[48:49]
	v_mul_f64 v[48:49], v[4:5], v[48:49]
	;; [unrolled: 1-line block ×6, first 2 shown]
	v_fma_f64 v[0:1], v[0:1], v[12:13], v[140:141]
	v_fma_f64 v[2:3], v[2:3], v[12:13], -v[14:15]
	v_fma_f64 v[10:11], v[20:21], v[8:9], v[142:143]
	v_fma_f64 v[12:13], v[22:23], v[8:9], -v[144:145]
	;; [unrolled: 2-line block ×6, first 2 shown]
	s_waitcnt vmcnt(18)
	v_mul_f64 v[8:9], v[56:57], v[64:65]
	v_mul_f64 v[24:25], v[54:55], v[64:65]
	s_waitcnt vmcnt(17)
	v_mul_f64 v[30:31], v[60:61], v[68:69]
	v_mul_f64 v[32:33], v[58:59], v[68:69]
	ds_write_b128 v252, v[4:7]
	s_waitcnt vmcnt(15)
	v_mul_f64 v[38:39], v[72:73], v[76:77]
	v_mul_f64 v[40:41], v[70:71], v[76:77]
	v_fma_f64 v[22:23], v[54:55], v[62:63], v[8:9]
	v_fma_f64 v[24:25], v[56:57], v[62:63], -v[24:25]
	v_fma_f64 v[4:5], v[58:59], v[66:67], v[30:31]
	v_fma_f64 v[6:7], v[60:61], v[66:67], -v[32:33]
	;; [unrolled: 2-line block ×3, first 2 shown]
	ds_write_b128 v252, v[0:3] offset:768
	ds_write_b128 v252, v[10:13] offset:1536
	;; [unrolled: 1-line block ×8, first 2 shown]
	s_waitcnt vmcnt(12)
	v_mul_f64 v[0:1], v[80:81], v[88:89]
	v_mul_f64 v[2:3], v[78:79], v[88:89]
	s_waitcnt vmcnt(11)
	v_mul_f64 v[4:5], v[84:85], v[92:93]
	v_mul_f64 v[6:7], v[82:83], v[92:93]
	v_fma_f64 v[0:1], v[78:79], v[86:87], v[0:1]
	v_fma_f64 v[2:3], v[80:81], v[86:87], -v[2:3]
	v_fma_f64 v[4:5], v[82:83], v[90:91], v[4:5]
	v_fma_f64 v[6:7], v[84:85], v[90:91], -v[6:7]
	s_waitcnt vmcnt(6)
	v_mul_f64 v[8:9], v[96:97], v[112:113]
	v_mul_f64 v[10:11], v[94:95], v[112:113]
	;; [unrolled: 1-line block ×4, first 2 shown]
	s_waitcnt vmcnt(5)
	v_mul_f64 v[16:17], v[108:109], v[116:117]
	v_mul_f64 v[18:19], v[106:107], v[116:117]
	v_fma_f64 v[8:9], v[94:95], v[110:111], v[8:9]
	v_fma_f64 v[10:11], v[96:97], v[110:111], -v[10:11]
	s_waitcnt vmcnt(2)
	v_mul_f64 v[20:21], v[120:121], v[128:129]
	v_mul_f64 v[22:23], v[118:119], v[128:129]
	s_waitcnt vmcnt(1)
	v_mul_f64 v[24:25], v[124:125], v[132:133]
	v_mul_f64 v[26:27], v[122:123], v[132:133]
	v_fma_f64 v[12:13], v[98:99], v[102:103], v[12:13]
	v_fma_f64 v[14:15], v[100:101], v[102:103], -v[14:15]
	v_fma_f64 v[16:17], v[106:107], v[114:115], v[16:17]
	v_fma_f64 v[18:19], v[108:109], v[114:115], -v[18:19]
	v_fma_f64 v[20:21], v[118:119], v[126:127], v[20:21]
	s_waitcnt vmcnt(0)
	v_mul_f64 v[28:29], v[136:137], v[52:53]
	v_mul_f64 v[30:31], v[134:135], v[52:53]
	v_fma_f64 v[22:23], v[120:121], v[126:127], -v[22:23]
	v_fma_f64 v[24:25], v[122:123], v[130:131], v[24:25]
	v_fma_f64 v[26:27], v[124:125], v[130:131], -v[26:27]
	v_fma_f64 v[28:29], v[134:135], v[50:51], v[28:29]
	v_fma_f64 v[30:31], v[136:137], v[50:51], -v[30:31]
	ds_write_b128 v252, v[0:3] offset:6912
	ds_write_b128 v252, v[4:7] offset:7680
	;; [unrolled: 1-line block ×8, first 2 shown]
.LBB0_3:
	s_or_b64 exec, exec, s[6:7]
	s_load_dwordx2 s[0:1], s[4:5], 0x20
	s_load_dwordx2 s[8:9], s[4:5], 0x8
	s_waitcnt lgkmcnt(0)
	; wave barrier
	s_waitcnt lgkmcnt(0)
                                        ; implicit-def: $vgpr0_vgpr1
                                        ; implicit-def: $vgpr24_vgpr25
                                        ; implicit-def: $vgpr28_vgpr29
                                        ; implicit-def: $vgpr36_vgpr37
                                        ; implicit-def: $vgpr4_vgpr5
                                        ; implicit-def: $vgpr8_vgpr9
                                        ; implicit-def: $vgpr12_vgpr13
                                        ; implicit-def: $vgpr16_vgpr17
                                        ; implicit-def: $vgpr20_vgpr21
                                        ; implicit-def: $vgpr32_vgpr33
                                        ; implicit-def: $vgpr40_vgpr41
                                        ; implicit-def: $vgpr44_vgpr45
                                        ; implicit-def: $vgpr48_vgpr49
                                        ; implicit-def: $vgpr52_vgpr53
                                        ; implicit-def: $vgpr56_vgpr57
                                        ; implicit-def: $vgpr60_vgpr61
                                        ; implicit-def: $vgpr64_vgpr65
	s_and_saveexec_b64 s[2:3], vcc
	s_cbranch_execz .LBB0_5
; %bb.4:
	ds_read_b128 v[0:3], v252
	ds_read_b128 v[24:27], v252 offset:768
	ds_read_b128 v[28:31], v252 offset:1536
	;; [unrolled: 1-line block ×16, first 2 shown]
.LBB0_5:
	s_or_b64 exec, exec, s[2:3]
	s_waitcnt lgkmcnt(0)
	v_add_f64 v[126:127], v[26:27], -v[66:67]
	v_add_f64 v[124:125], v[24:25], -v[64:65]
	s_mov_b32 s10, 0x5d8e7cdc
	s_mov_b32 s11, 0xbfd71e95
	v_add_f64 v[108:109], v[24:25], v[64:65]
	v_add_f64 v[134:135], v[26:27], v[66:67]
	v_add_f64 v[132:133], v[30:31], -v[62:63]
	v_add_f64 v[130:131], v[28:29], -v[60:61]
	v_mul_f64 v[110:111], v[126:127], s[10:11]
	v_mul_f64 v[114:115], v[124:125], s[10:11]
	s_mov_b32 s2, 0x370991
	s_mov_b32 s16, 0x2a9d6da3
	;; [unrolled: 1-line block ×4, first 2 shown]
	v_add_f64 v[112:113], v[28:29], v[60:61]
	v_mul_f64 v[116:117], v[132:133], s[16:17]
	v_fma_f64 v[68:69], v[108:109], s[2:3], v[110:111]
	v_add_f64 v[146:147], v[30:31], v[62:63]
	v_add_f64 v[136:137], v[38:39], -v[58:59]
	v_mul_f64 v[118:119], v[130:131], s[16:17]
	v_fma_f64 v[70:71], v[134:135], s[2:3], -v[114:115]
	v_add_f64 v[142:143], v[36:37], -v[56:57]
	s_mov_b32 s4, 0x75d4884
	s_mov_b32 s20, 0x7c9e640b
	;; [unrolled: 1-line block ×4, first 2 shown]
	v_fma_f64 v[72:73], v[112:113], s[4:5], v[116:117]
	v_add_f64 v[68:69], v[0:1], v[68:69]
	v_add_f64 v[120:121], v[36:37], v[56:57]
	v_mul_f64 v[122:123], v[136:137], s[20:21]
	v_fma_f64 v[74:75], v[146:147], s[4:5], -v[118:119]
	v_add_f64 v[70:71], v[2:3], v[70:71]
	v_add_f64 v[156:157], v[38:39], v[58:59]
	v_mul_f64 v[128:129], v[142:143], s[20:21]
	v_add_f64 v[150:151], v[6:7], -v[54:55]
	v_add_f64 v[158:159], v[4:5], -v[52:53]
	s_mov_b32 s6, 0x2b2883cd
	s_mov_b32 s26, 0xeb564b22
	;; [unrolled: 1-line block ×4, first 2 shown]
	v_add_f64 v[68:69], v[72:73], v[68:69]
	v_fma_f64 v[72:73], v[120:121], s[6:7], v[122:123]
	v_add_f64 v[70:71], v[74:75], v[70:71]
	v_add_f64 v[138:139], v[4:5], v[52:53]
	v_fma_f64 v[74:75], v[156:157], s[6:7], -v[128:129]
	v_mul_f64 v[140:141], v[150:151], s[26:27]
	v_add_f64 v[176:177], v[6:7], v[54:55]
	v_mul_f64 v[144:145], v[158:159], s[26:27]
	v_add_f64 v[166:167], v[10:11], -v[50:51]
	v_add_f64 v[170:171], v[8:9], -v[48:49]
	s_mov_b32 s22, 0x3259b75e
	s_mov_b32 s30, 0x923c349f
	s_mov_b32 s23, 0x3fb79ee6
	s_mov_b32 s31, 0xbfeec746
	v_add_f64 v[68:69], v[72:73], v[68:69]
	v_add_f64 v[70:71], v[74:75], v[70:71]
	v_fma_f64 v[72:73], v[138:139], s[22:23], v[140:141]
	v_fma_f64 v[74:75], v[176:177], s[22:23], -v[144:145]
	v_add_f64 v[152:153], v[8:9], v[48:49]
	v_mul_f64 v[148:149], v[166:167], s[30:31]
	v_add_f64 v[188:189], v[10:11], v[50:51]
	v_mul_f64 v[154:155], v[170:171], s[30:31]
	v_add_f64 v[178:179], v[14:15], -v[46:47]
	v_add_f64 v[184:185], v[12:13], -v[44:45]
	s_mov_b32 s24, 0xc61f0d01
	s_mov_b32 s36, 0x6c9a05f6
	s_mov_b32 s25, 0xbfd183b1
	s_mov_b32 s37, 0xbfe9895b
	v_add_f64 v[68:69], v[72:73], v[68:69]
	v_add_f64 v[70:71], v[74:75], v[70:71]
	v_fma_f64 v[72:73], v[152:153], s[24:25], v[148:149]
	v_fma_f64 v[74:75], v[188:189], s[24:25], -v[154:155]
	v_add_f64 v[162:163], v[12:13], v[44:45]
	;; [unrolled: 14-line block ×4, first 2 shown]
	v_mul_f64 v[182:183], v[194:195], s[42:43]
	v_add_f64 v[204:205], v[22:23], v[34:35]
	v_mul_f64 v[186:187], v[198:199], s[42:43]
	s_mov_b32 s38, 0x7faef3
	s_mov_b32 s39, 0xbfef7484
	v_add_f64 v[68:69], v[72:73], v[68:69]
	v_add_f64 v[70:71], v[74:75], v[70:71]
	v_fma_f64 v[72:73], v[180:181], s[38:39], v[182:183]
	; wave barrier
	v_fma_f64 v[74:75], v[204:205], s[38:39], -v[186:187]
	v_add_f64 v[72:73], v[72:73], v[68:69]
	v_add_f64 v[74:75], v[74:75], v[70:71]
	s_and_saveexec_b64 s[18:19], vcc
	s_cbranch_execz .LBB0_7
; %bb.6:
	v_mul_f64 v[68:69], v[134:135], s[38:39]
	s_mov_b32 s49, 0x3fc7851a
	s_mov_b32 s48, s42
	v_mul_f64 v[78:79], v[146:147], s[2:3]
	v_mul_f64 v[86:87], v[156:157], s[34:35]
	;; [unrolled: 1-line block ×3, first 2 shown]
	s_mov_b32 s47, 0x3fe0d888
	s_mov_b32 s46, s40
	v_fma_f64 v[80:81], v[124:125], s[48:49], v[68:69]
	s_mov_b32 s51, 0x3fd71e95
	s_mov_b32 s50, s10
	v_fma_f64 v[88:89], v[130:131], s[10:11], v[78:79]
	v_mul_f64 v[90:91], v[176:177], s[4:5]
	v_fma_f64 v[94:95], v[142:143], s[46:47], v[86:87]
	v_fma_f64 v[96:97], v[108:109], s[38:39], v[92:93]
	v_mul_f64 v[84:85], v[188:189], s[28:29]
	v_add_f64 v[80:81], v[2:3], v[80:81]
	v_fma_f64 v[68:69], v[124:125], s[42:43], v[68:69]
	s_mov_b32 s55, 0x3fe9895b
	s_mov_b32 s54, s36
	v_fma_f64 v[100:101], v[158:159], s[16:17], v[90:91]
	s_mov_b32 s57, 0x3fe58eea
	v_add_f64 v[96:97], v[0:1], v[96:97]
	s_mov_b32 s56, s16
	v_add_f64 v[80:81], v[88:89], v[80:81]
	v_mul_f64 v[88:89], v[132:133], s[50:51]
	v_mul_f64 v[82:83], v[196:197], s[6:7]
	v_fma_f64 v[106:107], v[170:171], s[54:55], v[84:85]
	v_fma_f64 v[92:93], v[108:109], s[38:39], -v[92:93]
	v_fma_f64 v[78:79], v[130:131], s[50:51], v[78:79]
	v_add_f64 v[68:69], v[2:3], v[68:69]
	v_mul_f64 v[98:99], v[166:167], s[36:37]
	v_add_f64 v[80:81], v[94:95], v[80:81]
	v_mul_f64 v[94:95], v[136:137], s[40:41]
	v_fma_f64 v[102:103], v[112:113], s[2:3], v[88:89]
	v_fma_f64 v[88:89], v[112:113], s[2:3], -v[88:89]
	v_add_f64 v[92:93], v[0:1], v[92:93]
	v_fma_f64 v[86:87], v[142:143], s[40:41], v[86:87]
	v_add_f64 v[68:69], v[78:79], v[68:69]
	s_mov_b32 s53, 0x3feca52d
	v_add_f64 v[80:81], v[100:101], v[80:81]
	v_mul_f64 v[100:101], v[150:151], s[56:57]
	v_fma_f64 v[206:207], v[120:121], s[34:35], v[94:95]
	v_add_f64 v[96:97], v[102:103], v[96:97]
	v_fma_f64 v[102:103], v[184:185], s[20:21], v[82:83]
	s_mov_b32 s52, s20
	v_mul_f64 v[104:105], v[178:179], s[52:53]
	v_add_f64 v[88:89], v[88:89], v[92:93]
	v_add_f64 v[80:81], v[106:107], v[80:81]
	v_fma_f64 v[106:107], v[138:139], s[4:5], v[100:101]
	v_fma_f64 v[90:91], v[158:159], s[56:57], v[90:91]
	v_add_f64 v[96:97], v[206:207], v[96:97]
	v_add_f64 v[68:69], v[86:87], v[68:69]
	v_mul_f64 v[70:71], v[200:201], s[24:25]
	v_fma_f64 v[94:95], v[120:121], s[34:35], -v[94:95]
	v_mul_f64 v[86:87], v[190:191], s[30:31]
	v_add_f64 v[80:81], v[102:103], v[80:81]
	v_fma_f64 v[102:103], v[152:153], s[28:29], v[98:99]
	v_fma_f64 v[84:85], v[170:171], s[36:37], v[84:85]
	v_add_f64 v[92:93], v[106:107], v[96:97]
	v_fma_f64 v[96:97], v[162:163], s[6:7], v[104:105]
	v_add_f64 v[68:69], v[90:91], v[68:69]
	s_mov_b32 s45, 0x3feec746
	s_mov_b32 s44, s30
	;; [unrolled: 1-line block ×4, first 2 shown]
	v_fma_f64 v[78:79], v[192:193], s[44:45], v[70:71]
	v_add_f64 v[92:93], v[102:103], v[92:93]
	v_fma_f64 v[100:101], v[138:139], s[4:5], -v[100:101]
	v_add_f64 v[88:89], v[94:95], v[88:89]
	v_mul_f64 v[90:91], v[194:195], s[58:59]
	v_fma_f64 v[94:95], v[172:173], s[24:25], v[86:87]
	v_fma_f64 v[82:83], v[184:185], s[52:53], v[82:83]
	v_add_f64 v[68:69], v[84:85], v[68:69]
	v_mul_f64 v[76:77], v[204:205], s[22:23]
	v_add_f64 v[92:93], v[96:97], v[92:93]
	v_fma_f64 v[98:99], v[152:153], s[28:29], -v[98:99]
	v_add_f64 v[88:89], v[100:101], v[88:89]
	v_add_f64 v[78:79], v[78:79], v[80:81]
	v_fma_f64 v[80:81], v[180:181], s[22:23], v[90:91]
	v_fma_f64 v[96:97], v[162:163], s[6:7], -v[104:105]
	v_add_f64 v[82:83], v[82:83], v[68:69]
	v_fma_f64 v[84:85], v[198:199], s[26:27], v[76:77]
	v_add_f64 v[92:93], v[94:95], v[92:93]
	v_fma_f64 v[94:95], v[192:193], s[30:31], v[70:71]
	v_add_f64 v[88:89], v[98:99], v[88:89]
	v_mul_f64 v[210:211], v[156:157], s[22:23]
	v_mul_f64 v[104:105], v[132:133], s[52:53]
	;; [unrolled: 1-line block ×4, first 2 shown]
	v_add_f64 v[70:71], v[84:85], v[78:79]
	v_add_f64 v[68:69], v[80:81], v[92:93]
	;; [unrolled: 1-line block ×3, first 2 shown]
	v_mul_f64 v[82:83], v[134:135], s[34:35]
	v_fma_f64 v[78:79], v[172:173], s[24:25], -v[86:87]
	v_add_f64 v[84:85], v[96:97], v[88:89]
	v_mul_f64 v[94:95], v[146:147], s[6:7]
	v_fma_f64 v[222:223], v[142:143], s[58:59], v[210:211]
	v_mul_f64 v[218:219], v[136:137], s[26:27]
	v_fma_f64 v[220:221], v[112:113], s[6:7], v[104:105]
	v_fma_f64 v[104:105], v[112:113], s[6:7], -v[104:105]
	v_fma_f64 v[96:97], v[124:125], s[46:47], v[82:83]
	v_fma_f64 v[82:83], v[124:125], s[40:41], v[82:83]
	v_add_f64 v[78:79], v[78:79], v[84:85]
	v_mul_f64 v[84:85], v[126:127], s[40:41]
	v_fma_f64 v[212:213], v[130:131], s[20:21], v[94:95]
	v_fma_f64 v[94:95], v[130:131], s[52:53], v[94:95]
	v_fma_f64 v[88:89], v[180:181], s[22:23], -v[90:91]
	v_mul_f64 v[90:91], v[196:197], s[38:39]
	v_add_f64 v[96:97], v[2:3], v[96:97]
	v_add_f64 v[82:83], v[2:3], v[82:83]
	v_fma_f64 v[216:217], v[170:171], s[50:51], v[100:101]
	v_fma_f64 v[106:107], v[108:109], s[34:35], v[84:85]
	v_fma_f64 v[84:85], v[108:109], s[34:35], -v[84:85]
	v_mul_f64 v[224:225], v[150:151], s[54:55]
	v_fma_f64 v[210:211], v[142:143], s[26:27], v[210:211]
	v_fma_f64 v[102:103], v[184:185], s[48:49], v[90:91]
	v_add_f64 v[96:97], v[212:213], v[96:97]
	v_fma_f64 v[212:213], v[158:159], s[36:37], v[214:215]
	v_add_f64 v[82:83], v[94:95], v[82:83]
	v_add_f64 v[106:107], v[0:1], v[106:107]
	;; [unrolled: 1-line block ×3, first 2 shown]
	v_fma_f64 v[226:227], v[120:121], s[22:23], v[218:219]
	v_fma_f64 v[214:215], v[158:159], s[54:55], v[214:215]
	v_mul_f64 v[86:87], v[200:201], s[4:5]
	v_add_f64 v[96:97], v[222:223], v[96:97]
	v_fma_f64 v[222:223], v[138:139], s[28:29], v[224:225]
	v_add_f64 v[82:83], v[210:211], v[82:83]
	v_add_f64 v[106:107], v[220:221], v[106:107]
	v_add_f64 v[84:85], v[104:105], v[84:85]
	v_mul_f64 v[220:221], v[166:167], s[10:11]
	v_fma_f64 v[210:211], v[138:139], s[28:29], -v[224:225]
	v_mul_f64 v[104:105], v[178:179], s[42:43]
	v_add_f64 v[94:95], v[212:213], v[96:97]
	v_fma_f64 v[96:97], v[120:121], s[22:23], -v[218:219]
	v_fma_f64 v[100:101], v[170:171], s[10:11], v[100:101]
	v_add_f64 v[106:107], v[226:227], v[106:107]
	v_add_f64 v[82:83], v[214:215], v[82:83]
	v_fma_f64 v[212:213], v[152:153], s[2:3], v[220:221]
	v_fma_f64 v[76:77], v[198:199], s[58:59], v[76:77]
	v_mul_f64 v[92:93], v[204:205], s[24:25]
	v_add_f64 v[94:95], v[216:217], v[94:95]
	v_add_f64 v[84:85], v[96:97], v[84:85]
	v_mul_f64 v[96:97], v[190:191], s[56:57]
	v_add_f64 v[106:107], v[222:223], v[106:107]
	v_fma_f64 v[216:217], v[162:163], s[38:39], v[104:105]
	v_fma_f64 v[104:105], v[162:163], s[38:39], -v[104:105]
	v_fma_f64 v[98:99], v[192:193], s[16:17], v[86:87]
	v_fma_f64 v[90:91], v[184:185], s[42:43], v[90:91]
	v_add_f64 v[94:95], v[102:103], v[94:95]
	v_fma_f64 v[102:103], v[152:153], s[2:3], -v[220:221]
	v_add_f64 v[84:85], v[210:211], v[84:85]
	v_add_f64 v[106:107], v[212:213], v[106:107]
	v_fma_f64 v[212:213], v[172:173], s[4:5], v[96:97]
	v_fma_f64 v[96:97], v[172:173], s[4:5], -v[96:97]
	v_mul_f64 v[210:211], v[194:195], s[30:31]
	v_add_f64 v[82:83], v[100:101], v[82:83]
	v_fma_f64 v[100:101], v[198:199], s[44:45], v[92:93]
	v_add_f64 v[94:95], v[98:99], v[94:95]
	v_add_f64 v[84:85], v[102:103], v[84:85]
	;; [unrolled: 1-line block ×3, first 2 shown]
	v_mul_f64 v[216:217], v[156:157], s[2:3]
	v_mul_f64 v[222:223], v[132:133], s[44:45]
	v_fma_f64 v[98:99], v[180:181], s[24:25], v[210:211]
	v_add_f64 v[90:91], v[90:91], v[82:83]
	v_add_f64 v[82:83], v[76:77], v[80:81]
	;; [unrolled: 1-line block ×5, first 2 shown]
	v_fma_f64 v[88:89], v[198:199], s[30:31], v[92:93]
	v_fma_f64 v[92:93], v[180:181], s[24:25], -v[210:211]
	v_mul_f64 v[106:107], v[126:127], s[36:37]
	v_mul_f64 v[210:211], v[146:147], s[24:25]
	v_mov_b32_e32 v253, v228
	v_fma_f64 v[228:229], v[142:143], s[50:51], v[216:217]
	v_add_f64 v[84:85], v[96:97], v[84:85]
	v_mul_f64 v[96:97], v[134:135], s[28:29]
	v_add_f64 v[76:77], v[98:99], v[102:103]
	v_mul_f64 v[102:103], v[176:177], s[34:35]
	v_fma_f64 v[224:225], v[108:109], s[28:29], v[106:107]
	v_fma_f64 v[226:227], v[130:131], s[30:31], v[210:211]
	v_fma_f64 v[106:107], v[108:109], s[28:29], -v[106:107]
	v_mul_f64 v[230:231], v[136:137], s[10:11]
	v_fma_f64 v[232:233], v[112:113], s[24:25], v[222:223]
	v_fma_f64 v[214:215], v[124:125], s[54:55], v[96:97]
	;; [unrolled: 1-line block ×4, first 2 shown]
	v_add_f64 v[224:225], v[0:1], v[224:225]
	v_fma_f64 v[222:223], v[112:113], s[24:25], -v[222:223]
	v_add_f64 v[106:107], v[0:1], v[106:107]
	v_add_f64 v[78:79], v[100:101], v[94:95]
	v_mul_f64 v[100:101], v[188:189], s[22:23]
	v_add_f64 v[214:215], v[2:3], v[214:215]
	v_add_f64 v[96:97], v[2:3], v[96:97]
	v_fma_f64 v[220:221], v[158:159], s[46:47], v[102:103]
	v_fma_f64 v[234:235], v[120:121], s[2:3], v[230:231]
	v_add_f64 v[224:225], v[232:233], v[224:225]
	v_fma_f64 v[216:217], v[142:143], s[10:11], v[216:217]
	v_add_f64 v[106:107], v[222:223], v[106:107]
	;; [unrolled: 2-line block ×3, first 2 shown]
	v_mul_f64 v[226:227], v[150:151], s[40:41]
	v_add_f64 v[96:97], v[210:211], v[96:97]
	v_mul_f64 v[94:95], v[196:197], s[4:5]
	v_fma_f64 v[218:219], v[170:171], s[26:27], v[100:101]
	v_mul_f64 v[222:223], v[166:167], s[58:59]
	v_add_f64 v[224:225], v[234:235], v[224:225]
	v_fma_f64 v[102:103], v[158:159], s[40:41], v[102:103]
	v_add_f64 v[210:211], v[228:229], v[214:215]
	v_fma_f64 v[214:215], v[120:121], s[2:3], -v[230:231]
	v_fma_f64 v[228:229], v[138:139], s[34:35], v[226:227]
	v_add_f64 v[96:97], v[216:217], v[96:97]
	v_fma_f64 v[216:217], v[138:139], s[34:35], -v[226:227]
	v_add_f64 v[86:87], v[86:87], v[90:91]
	v_mul_f64 v[90:91], v[200:201], s[38:39]
	v_fma_f64 v[212:213], v[184:185], s[56:57], v[94:95]
	v_add_f64 v[210:211], v[220:221], v[210:211]
	v_add_f64 v[106:107], v[214:215], v[106:107]
	v_mul_f64 v[214:215], v[178:179], s[16:17]
	v_fma_f64 v[220:221], v[152:153], s[22:23], v[222:223]
	v_add_f64 v[224:225], v[228:229], v[224:225]
	v_fma_f64 v[100:101], v[170:171], s[58:59], v[100:101]
	v_add_f64 v[96:97], v[102:103], v[96:97]
	v_mul_f64 v[98:99], v[204:205], s[6:7]
	v_add_f64 v[102:103], v[218:219], v[210:211]
	v_fma_f64 v[210:211], v[152:153], s[22:23], -v[222:223]
	v_add_f64 v[106:107], v[216:217], v[106:107]
	v_fma_f64 v[104:105], v[192:193], s[48:49], v[90:91]
	v_mul_f64 v[216:217], v[190:191], s[42:43]
	v_fma_f64 v[218:219], v[162:163], s[4:5], v[214:215]
	v_add_f64 v[220:221], v[220:221], v[224:225]
	v_fma_f64 v[94:95], v[184:185], s[16:17], v[94:95]
	v_add_f64 v[96:97], v[100:101], v[96:97]
	v_add_f64 v[100:101], v[212:213], v[102:103]
	v_fma_f64 v[102:103], v[162:163], s[4:5], -v[214:215]
	v_add_f64 v[106:107], v[210:211], v[106:107]
	v_mul_f64 v[210:211], v[194:195], s[52:53]
	v_fma_f64 v[212:213], v[172:173], s[38:39], v[216:217]
	v_add_f64 v[214:215], v[218:219], v[220:221]
	v_fma_f64 v[90:91], v[192:193], s[42:43], v[90:91]
	v_add_f64 v[94:95], v[94:95], v[96:97]
	v_fma_f64 v[96:97], v[198:199], s[20:21], v[98:99]
	v_fma_f64 v[216:217], v[172:173], s[38:39], -v[216:217]
	v_add_f64 v[102:103], v[102:103], v[106:107]
	v_add_f64 v[100:101], v[104:105], v[100:101]
	v_fma_f64 v[104:105], v[180:181], s[6:7], v[210:211]
	v_add_f64 v[106:107], v[212:213], v[214:215]
	v_fma_f64 v[98:99], v[198:199], s[52:53], v[98:99]
	v_add_f64 v[94:95], v[90:91], v[94:95]
	v_fma_f64 v[210:211], v[180:181], s[6:7], -v[210:211]
	v_mul_f64 v[212:213], v[134:135], s[24:25]
	v_add_f64 v[102:103], v[216:217], v[102:103]
	v_add_f64 v[90:91], v[96:97], v[100:101]
	v_mul_f64 v[100:101], v[126:127], s[30:31]
	v_add_f64 v[84:85], v[92:93], v[84:85]
	v_mul_f64 v[218:219], v[132:133], s[46:47]
	;; [unrolled: 2-line block ×3, first 2 shown]
	v_mul_f64 v[228:229], v[136:137], s[56:57]
	v_add_f64 v[92:93], v[210:211], v[102:103]
	v_fma_f64 v[102:103], v[124:125], s[44:45], v[212:213]
	v_fma_f64 v[220:221], v[108:109], s[24:25], v[100:101]
	v_mul_f64 v[210:211], v[156:157], s[4:5]
	v_fma_f64 v[212:213], v[124:125], s[30:31], v[212:213]
	v_fma_f64 v[230:231], v[112:113], s[34:35], v[218:219]
	;; [unrolled: 1-line block ×3, first 2 shown]
	v_mul_f64 v[224:225], v[176:177], s[6:7]
	v_fma_f64 v[98:99], v[130:131], s[46:47], v[98:99]
	v_add_f64 v[102:103], v[2:3], v[102:103]
	v_add_f64 v[220:221], v[0:1], v[220:221]
	v_fma_f64 v[226:227], v[142:143], s[16:17], v[210:211]
	v_add_f64 v[212:213], v[2:3], v[212:213]
	v_mul_f64 v[234:235], v[150:151], s[20:21]
	v_fma_f64 v[236:237], v[120:121], s[4:5], v[228:229]
	v_fma_f64 v[232:233], v[158:159], s[52:53], v[224:225]
	;; [unrolled: 1-line block ×3, first 2 shown]
	v_add_f64 v[102:103], v[216:217], v[102:103]
	v_add_f64 v[220:221], v[230:231], v[220:221]
	v_mul_f64 v[216:217], v[188:189], s[38:39]
	v_fma_f64 v[100:101], v[108:109], s[24:25], -v[100:101]
	v_add_f64 v[98:99], v[98:99], v[212:213]
	v_mul_f64 v[212:213], v[166:167], s[42:43]
	v_fma_f64 v[230:231], v[138:139], s[6:7], v[234:235]
	v_add_f64 v[86:87], v[88:89], v[86:87]
	v_add_f64 v[102:103], v[226:227], v[102:103]
	;; [unrolled: 1-line block ×4, first 2 shown]
	v_mul_f64 v[104:105], v[196:197], s[22:23]
	v_fma_f64 v[226:227], v[170:171], s[48:49], v[216:217]
	v_fma_f64 v[224:225], v[158:159], s[20:21], v[224:225]
	v_fma_f64 v[218:219], v[112:113], s[34:35], -v[218:219]
	v_add_f64 v[100:101], v[0:1], v[100:101]
	v_add_f64 v[102:103], v[232:233], v[102:103]
	;; [unrolled: 1-line block ×3, first 2 shown]
	v_mul_f64 v[210:211], v[178:179], s[58:59]
	v_fma_f64 v[232:233], v[152:153], s[38:39], v[212:213]
	v_add_f64 v[220:221], v[230:231], v[220:221]
	v_mul_f64 v[96:97], v[200:201], s[2:3]
	v_fma_f64 v[222:223], v[184:185], s[26:27], v[104:105]
	v_fma_f64 v[216:217], v[170:171], s[42:43], v[216:217]
	v_add_f64 v[102:103], v[226:227], v[102:103]
	v_fma_f64 v[226:227], v[120:121], s[4:5], -v[228:229]
	v_add_f64 v[100:101], v[218:219], v[100:101]
	v_add_f64 v[98:99], v[224:225], v[98:99]
	v_mul_f64 v[218:219], v[190:191], s[10:11]
	v_fma_f64 v[224:225], v[162:163], s[22:23], v[210:211]
	v_add_f64 v[220:221], v[232:233], v[220:221]
	v_fma_f64 v[214:215], v[192:193], s[50:51], v[96:97]
	v_add_f64 v[102:103], v[222:223], v[102:103]
	v_fma_f64 v[104:105], v[184:185], s[58:59], v[104:105]
	v_fma_f64 v[222:223], v[138:139], s[6:7], -v[234:235]
	v_add_f64 v[100:101], v[226:227], v[100:101]
	v_add_f64 v[98:99], v[216:217], v[98:99]
	v_mul_f64 v[216:217], v[194:195], s[36:37]
	v_fma_f64 v[226:227], v[172:173], s[2:3], v[218:219]
	v_add_f64 v[220:221], v[224:225], v[220:221]
	v_mul_f64 v[106:107], v[204:205], s[28:29]
	v_fma_f64 v[96:97], v[192:193], s[10:11], v[96:97]
	v_fma_f64 v[212:213], v[152:153], s[38:39], -v[212:213]
	v_add_f64 v[100:101], v[222:223], v[100:101]
	v_add_f64 v[98:99], v[104:105], v[98:99]
	;; [unrolled: 1-line block ×3, first 2 shown]
	v_fma_f64 v[104:105], v[180:181], s[28:29], v[216:217]
	v_add_f64 v[214:215], v[226:227], v[220:221]
	v_fma_f64 v[224:225], v[198:199], s[54:55], v[106:107]
	v_fma_f64 v[106:107], v[198:199], s[36:37], v[106:107]
	v_mul_f64 v[220:221], v[134:135], s[22:23]
	v_add_f64 v[100:101], v[212:213], v[100:101]
	v_add_f64 v[212:213], v[96:97], v[98:99]
	v_fma_f64 v[210:211], v[162:163], s[22:23], -v[210:211]
	v_mul_f64 v[222:223], v[146:147], s[38:39]
	v_add_f64 v[96:97], v[104:105], v[214:215]
	v_mul_f64 v[104:105], v[126:127], s[26:27]
	v_add_f64 v[98:99], v[224:225], v[102:103]
	v_fma_f64 v[214:215], v[124:125], s[58:59], v[220:221]
	v_fma_f64 v[218:219], v[172:173], s[2:3], -v[218:219]
	v_add_f64 v[102:103], v[106:107], v[212:213]
	v_mul_f64 v[212:213], v[132:133], s[42:43]
	v_add_f64 v[100:101], v[210:211], v[100:101]
	v_mul_f64 v[106:107], v[156:157], s[24:25]
	v_fma_f64 v[224:225], v[108:109], s[22:23], v[104:105]
	v_fma_f64 v[210:211], v[130:131], s[48:49], v[222:223]
	v_add_f64 v[214:215], v[2:3], v[214:215]
	v_mul_f64 v[228:229], v[136:137], s[44:45]
	v_fma_f64 v[220:221], v[124:125], s[26:27], v[220:221]
	v_fma_f64 v[230:231], v[112:113], s[38:39], v[212:213]
	v_add_f64 v[100:101], v[218:219], v[100:101]
	v_mul_f64 v[218:219], v[176:177], s[2:3]
	v_add_f64 v[224:225], v[0:1], v[224:225]
	v_fma_f64 v[226:227], v[142:143], s[30:31], v[106:107]
	v_add_f64 v[210:211], v[210:211], v[214:215]
	v_mul_f64 v[236:237], v[150:151], s[50:51]
	v_fma_f64 v[238:239], v[120:121], s[24:25], v[228:229]
	v_mul_f64 v[232:233], v[188:189], s[6:7]
	v_fma_f64 v[222:223], v[130:131], s[42:43], v[222:223]
	v_fma_f64 v[234:235], v[158:159], s[10:11], v[218:219]
	v_add_f64 v[224:225], v[230:231], v[224:225]
	v_add_f64 v[220:221], v[2:3], v[220:221]
	;; [unrolled: 1-line block ×3, first 2 shown]
	v_mul_f64 v[240:241], v[166:167], s[20:21]
	v_fma_f64 v[242:243], v[138:139], s[2:3], v[236:237]
	v_mul_f64 v[226:227], v[196:197], s[34:35]
	v_fma_f64 v[230:231], v[170:171], s[52:53], v[232:233]
	v_fma_f64 v[106:107], v[142:143], s[44:45], v[106:107]
	v_add_f64 v[224:225], v[238:239], v[224:225]
	v_add_f64 v[220:221], v[222:223], v[220:221]
	;; [unrolled: 1-line block ×3, first 2 shown]
	v_mul_f64 v[222:223], v[178:179], s[40:41]
	v_fma_f64 v[244:245], v[152:153], s[6:7], v[240:241]
	v_fma_f64 v[104:105], v[108:109], s[22:23], -v[104:105]
	v_mul_f64 v[234:235], v[200:201], s[28:29]
	v_fma_f64 v[238:239], v[184:185], s[46:47], v[226:227]
	v_add_f64 v[224:225], v[242:243], v[224:225]
	v_fma_f64 v[218:219], v[158:159], s[50:51], v[218:219]
	v_add_f64 v[210:211], v[230:231], v[210:211]
	v_add_f64 v[106:107], v[106:107], v[220:221]
	v_mul_f64 v[220:221], v[190:191], s[54:55]
	v_fma_f64 v[242:243], v[162:163], s[34:35], v[222:223]
	v_fma_f64 v[212:213], v[112:113], s[38:39], -v[212:213]
	v_add_f64 v[104:105], v[0:1], v[104:105]
	v_add_f64 v[224:225], v[244:245], v[224:225]
	v_fma_f64 v[216:217], v[180:181], s[28:29], -v[216:217]
	v_mul_f64 v[214:215], v[204:205], s[4:5]
	v_fma_f64 v[230:231], v[192:193], s[36:37], v[234:235]
	v_add_f64 v[210:211], v[238:239], v[210:211]
	v_fma_f64 v[232:233], v[170:171], s[20:21], v[232:233]
	v_add_f64 v[106:107], v[218:219], v[106:107]
	v_mul_f64 v[218:219], v[194:195], s[56:57]
	v_fma_f64 v[238:239], v[172:173], s[28:29], v[220:221]
	v_add_f64 v[224:225], v[242:243], v[224:225]
	v_fma_f64 v[228:229], v[120:121], s[24:25], -v[228:229]
	v_add_f64 v[104:105], v[212:213], v[104:105]
	v_fma_f64 v[242:243], v[198:199], s[16:17], v[214:215]
	v_fma_f64 v[212:213], v[184:185], s[40:41], v[226:227]
	v_add_f64 v[106:107], v[232:233], v[106:107]
	v_add_f64 v[210:211], v[230:231], v[210:211]
	v_fma_f64 v[226:227], v[180:181], s[4:5], v[218:219]
	v_add_f64 v[224:225], v[238:239], v[224:225]
	v_add_f64 v[100:101], v[216:217], v[100:101]
	v_fma_f64 v[216:217], v[138:139], s[2:3], -v[236:237]
	v_add_f64 v[228:229], v[228:229], v[104:105]
	v_mul_f64 v[232:233], v[134:135], s[6:7]
	v_fma_f64 v[230:231], v[192:193], s[54:55], v[234:235]
	v_add_f64 v[212:213], v[212:213], v[106:107]
	v_add_f64 v[106:107], v[242:243], v[210:211]
	;; [unrolled: 1-line block ×3, first 2 shown]
	v_fma_f64 v[210:211], v[152:153], s[6:7], -v[240:241]
	v_mul_f64 v[224:225], v[126:127], s[20:21]
	v_add_f64 v[216:217], v[216:217], v[228:229]
	v_mul_f64 v[226:227], v[146:147], s[28:29]
	v_fma_f64 v[228:229], v[124:125], s[52:53], v[232:233]
	v_fma_f64 v[232:233], v[124:125], s[20:21], v[232:233]
	v_add_f64 v[212:213], v[230:231], v[212:213]
	v_fma_f64 v[222:223], v[162:163], s[34:35], -v[222:223]
	v_mul_f64 v[230:231], v[132:133], s[36:37]
	v_fma_f64 v[234:235], v[108:109], s[6:7], v[224:225]
	v_add_f64 v[210:211], v[210:211], v[216:217]
	v_fma_f64 v[216:217], v[172:173], s[28:29], -v[220:221]
	v_mul_f64 v[220:221], v[156:157], s[38:39]
	v_fma_f64 v[236:237], v[130:131], s[54:55], v[226:227]
	v_add_f64 v[228:229], v[2:3], v[228:229]
	v_fma_f64 v[226:227], v[130:131], s[36:37], v[226:227]
	v_add_f64 v[232:233], v[2:3], v[232:233]
	v_fma_f64 v[224:225], v[108:109], s[6:7], -v[224:225]
	v_fma_f64 v[214:215], v[198:199], s[56:57], v[214:215]
	v_mul_f64 v[238:239], v[136:137], s[48:49]
	v_fma_f64 v[240:241], v[112:113], s[28:29], v[230:231]
	v_add_f64 v[234:235], v[0:1], v[234:235]
	v_add_f64 v[210:211], v[222:223], v[210:211]
	v_mul_f64 v[222:223], v[176:177], s[24:25]
	v_fma_f64 v[242:243], v[142:143], s[42:43], v[220:221]
	v_add_f64 v[228:229], v[236:237], v[228:229]
	v_fma_f64 v[220:221], v[142:143], s[48:49], v[220:221]
	v_add_f64 v[226:227], v[226:227], v[232:233]
	v_fma_f64 v[230:231], v[112:113], s[28:29], -v[230:231]
	v_add_f64 v[224:225], v[0:1], v[224:225]
	v_fma_f64 v[218:219], v[180:181], s[4:5], -v[218:219]
	v_mul_f64 v[236:237], v[150:151], s[44:45]
	v_fma_f64 v[244:245], v[120:121], s[38:39], v[238:239]
	v_add_f64 v[234:235], v[240:241], v[234:235]
	v_add_f64 v[210:211], v[216:217], v[210:211]
	;; [unrolled: 1-line block ×3, first 2 shown]
	v_mul_f64 v[214:215], v[188:189], s[4:5]
	v_fma_f64 v[216:217], v[158:159], s[30:31], v[222:223]
	v_add_f64 v[228:229], v[242:243], v[228:229]
	v_add_f64 v[220:221], v[220:221], v[226:227]
	v_fma_f64 v[222:223], v[158:159], s[44:45], v[222:223]
	v_add_f64 v[224:225], v[230:231], v[224:225]
	v_fma_f64 v[238:239], v[120:121], s[38:39], -v[238:239]
	v_mul_f64 v[240:241], v[166:167], s[56:57]
	v_fma_f64 v[242:243], v[138:139], s[24:25], v[236:237]
	v_add_f64 v[234:235], v[244:245], v[234:235]
	v_add_f64 v[210:211], v[218:219], v[210:211]
	v_mul_f64 v[218:219], v[196:197], s[2:3]
	v_fma_f64 v[244:245], v[170:171], s[16:17], v[214:215]
	v_add_f64 v[216:217], v[216:217], v[228:229]
	v_add_f64 v[220:221], v[222:223], v[220:221]
	v_fma_f64 v[250:251], v[170:171], s[56:57], v[214:215]
	v_add_f64 v[224:225], v[238:239], v[224:225]
	v_fma_f64 v[236:237], v[138:139], s[24:25], -v[236:237]
	v_mul_f64 v[228:229], v[200:201], s[22:23]
	v_fma_f64 v[246:247], v[152:153], s[4:5], v[240:241]
	v_add_f64 v[234:235], v[242:243], v[234:235]
	v_mul_f64 v[242:243], v[178:179], s[10:11]
	v_fma_f64 v[248:249], v[184:185], s[50:51], v[218:219]
	v_add_f64 v[216:217], v[244:245], v[216:217]
	v_fma_f64 v[218:219], v[184:185], s[10:11], v[218:219]
	v_add_f64 v[220:221], v[250:251], v[220:221]
	v_fma_f64 v[240:241], v[152:153], s[4:5], -v[240:241]
	v_add_f64 v[224:225], v[236:237], v[224:225]
	v_add_f64 v[26:27], v[2:3], v[26:27]
	v_mul_f64 v[244:245], v[190:191], s[26:27]
	v_add_f64 v[234:235], v[246:247], v[234:235]
	v_fma_f64 v[246:247], v[162:163], s[2:3], v[242:243]
	v_mul_f64 v[232:233], v[204:205], s[34:35]
	v_add_f64 v[216:217], v[248:249], v[216:217]
	v_fma_f64 v[248:249], v[192:193], s[58:59], v[228:229]
	v_add_f64 v[24:25], v[0:1], v[24:25]
	v_add_f64 v[218:219], v[218:219], v[220:221]
	v_fma_f64 v[228:229], v[192:193], s[26:27], v[228:229]
	v_add_f64 v[224:225], v[240:241], v[224:225]
	v_fma_f64 v[242:243], v[162:163], s[2:3], -v[242:243]
	v_add_f64 v[26:27], v[26:27], v[30:31]
	v_mul_f64 v[30:31], v[134:135], s[4:5]
	v_add_f64 v[234:235], v[246:247], v[234:235]
	v_fma_f64 v[246:247], v[172:173], s[22:23], v[244:245]
	v_mul_f64 v[226:227], v[194:195], s[40:41]
	v_mul_f64 v[230:231], v[146:147], s[4:5]
	v_add_f64 v[216:217], v[248:249], v[216:217]
	v_fma_f64 v[248:249], v[198:199], s[46:47], v[232:233]
	v_add_f64 v[24:25], v[24:25], v[28:29]
	v_add_f64 v[218:219], v[228:229], v[218:219]
	v_fma_f64 v[232:233], v[198:199], s[40:41], v[232:233]
	v_add_f64 v[224:225], v[242:243], v[224:225]
	v_mul_f64 v[146:147], v[146:147], s[22:23]
	v_fma_f64 v[242:243], v[124:125], s[56:57], v[30:31]
	v_add_f64 v[234:235], v[246:247], v[234:235]
	v_fma_f64 v[246:247], v[180:181], s[34:35], v[226:227]
	v_mul_f64 v[238:239], v[156:157], s[6:7]
	v_add_f64 v[36:37], v[24:25], v[36:37]
	v_add_f64 v[24:25], v[232:233], v[218:219]
	v_fma_f64 v[218:219], v[180:181], s[34:35], -v[226:227]
	v_mul_f64 v[156:157], v[156:157], s[28:29]
	v_fma_f64 v[226:227], v[130:131], s[58:59], v[146:147]
	v_add_f64 v[232:233], v[2:3], v[242:243]
	v_mul_f64 v[126:127], v[126:127], s[16:17]
	v_add_f64 v[214:215], v[246:247], v[234:235]
	v_mul_f64 v[246:247], v[176:177], s[22:23]
	v_mul_f64 v[176:177], v[176:177], s[38:39]
	v_fma_f64 v[30:31], v[124:125], s[16:17], v[30:31]
	v_fma_f64 v[124:125], v[142:143], s[54:55], v[156:157]
	v_mul_f64 v[132:133], v[132:133], s[26:27]
	v_add_f64 v[226:227], v[226:227], v[232:233]
	v_fma_f64 v[232:233], v[108:109], s[4:5], v[126:127]
	v_add_f64 v[26:27], v[26:27], v[38:39]
	v_fma_f64 v[130:131], v[130:131], s[26:27], v[146:147]
	v_fma_f64 v[146:147], v[158:159], s[48:49], v[176:177]
	v_add_f64 v[30:31], v[2:3], v[30:31]
	v_mul_f64 v[136:137], v[136:137], s[36:37]
	v_fma_f64 v[142:143], v[142:143], s[36:37], v[156:157]
	v_add_f64 v[124:125], v[124:125], v[226:227]
	v_fma_f64 v[226:227], v[112:113], s[22:23], v[132:133]
	v_add_f64 v[232:233], v[0:1], v[232:233]
	v_add_f64 v[6:7], v[26:27], v[6:7]
	;; [unrolled: 1-line block ×4, first 2 shown]
	v_mul_f64 v[26:27], v[166:167], s[46:47]
	v_mul_f64 v[208:209], v[134:135], s[2:3]
	v_add_f64 v[124:125], v[146:147], v[124:125]
	v_mul_f64 v[146:147], v[150:151], s[42:43]
	v_fma_f64 v[150:151], v[120:121], s[28:29], v[136:137]
	v_add_f64 v[226:227], v[226:227], v[232:233]
	v_add_f64 v[6:7], v[6:7], v[10:11]
	;; [unrolled: 1-line block ×4, first 2 shown]
	v_mul_f64 v[8:9], v[178:179], s[44:45]
	v_fma_f64 v[10:11], v[152:153], s[34:35], v[26:27]
	v_fma_f64 v[36:37], v[138:139], s[38:39], v[146:147]
	v_mul_f64 v[38:39], v[204:205], s[2:3]
	v_add_f64 v[142:143], v[150:151], v[226:227]
	v_add_f64 v[6:7], v[6:7], v[14:15]
	v_mul_f64 v[202:203], v[108:109], s[2:3]
	v_add_f64 v[4:5], v[4:5], v[12:13]
	v_fma_f64 v[14:15], v[162:163], s[24:25], v[8:9]
	v_mul_f64 v[206:207], v[112:113], s[4:5]
	v_mul_f64 v[222:223], v[120:121], s[6:7]
	v_fma_f64 v[242:243], v[198:199], s[10:11], v[38:39]
	v_add_f64 v[36:37], v[36:37], v[142:143]
	v_add_f64 v[6:7], v[6:7], v[18:19]
	v_mul_f64 v[234:235], v[138:139], s[22:23]
	v_add_f64 v[4:5], v[4:5], v[16:17]
	v_add_f64 v[216:217], v[248:249], v[216:217]
	v_mul_f64 v[248:249], v[188:189], s[24:25]
	v_mul_f64 v[188:189], v[188:189], s[34:35]
	;; [unrolled: 1-line block ×3, first 2 shown]
	v_add_f64 v[10:11], v[10:11], v[36:37]
	v_add_f64 v[6:7], v[6:7], v[22:23]
	v_fma_f64 v[22:23], v[108:109], s[4:5], -v[126:127]
	v_add_f64 v[4:5], v[4:5], v[20:21]
	v_add_f64 v[20:21], v[202:203], -v[110:111]
	v_add_f64 v[110:111], v[118:119], v[230:231]
	v_fma_f64 v[108:109], v[112:113], s[22:23], -v[132:133]
	v_mul_f64 v[240:241], v[196:197], s[28:29]
	v_add_f64 v[10:11], v[14:15], v[10:11]
	v_fma_f64 v[14:15], v[198:199], s[50:51], v[38:39]
	v_add_f64 v[38:39], v[114:115], v[208:209]
	v_add_f64 v[6:7], v[6:7], v[34:35]
	;; [unrolled: 1-line block ×6, first 2 shown]
	v_add_f64 v[34:35], v[222:223], -v[122:123]
	v_fma_f64 v[22:23], v[120:121], s[28:29], -v[136:137]
	v_add_f64 v[2:3], v[2:3], v[38:39]
	v_add_f64 v[38:39], v[206:207], -v[116:117]
	v_add_f64 v[6:7], v[6:7], v[42:43]
	v_add_f64 v[4:5], v[4:5], v[40:41]
	;; [unrolled: 1-line block ×4, first 2 shown]
	v_mul_f64 v[196:197], v[196:197], s[24:25]
	v_fma_f64 v[232:233], v[170:171], s[40:41], v[188:189]
	v_add_f64 v[2:3], v[110:111], v[2:3]
	v_add_f64 v[20:21], v[38:39], v[20:21]
	;; [unrolled: 1-line block ×4, first 2 shown]
	v_fma_f64 v[158:159], v[158:159], s[42:43], v[176:177]
	v_fma_f64 v[38:39], v[138:139], s[38:39], -v[146:147]
	v_add_f64 v[0:1], v[22:23], v[0:1]
	v_fma_f64 v[22:23], v[152:153], s[34:35], -v[26:27]
	v_add_f64 v[2:3], v[32:33], v[2:3]
	v_add_f64 v[32:33], v[234:235], -v[140:141]
	v_add_f64 v[20:21], v[34:35], v[20:21]
	v_add_f64 v[26:27], v[154:155], v[248:249]
	;; [unrolled: 1-line block ×4, first 2 shown]
	v_mul_f64 v[220:221], v[162:163], s[28:29]
	v_add_f64 v[34:35], v[236:237], -v[148:149]
	v_add_f64 v[2:3], v[40:41], v[2:3]
	v_mul_f64 v[134:135], v[200:201], s[34:35]
	v_add_f64 v[20:21], v[32:33], v[20:21]
	v_mul_f64 v[200:201], v[200:201], s[6:7]
	v_fma_f64 v[130:131], v[184:185], s[30:31], v[196:197]
	v_add_f64 v[124:125], v[232:233], v[124:125]
	v_fma_f64 v[150:151], v[170:171], s[46:47], v[188:189]
	v_add_f64 v[30:31], v[158:159], v[30:31]
	v_add_f64 v[0:1], v[38:39], v[0:1]
	;; [unrolled: 1-line block ×6, first 2 shown]
	v_mul_f64 v[28:29], v[172:173], s[34:35]
	v_add_f64 v[26:27], v[220:221], -v[160:161]
	v_add_f64 v[20:21], v[34:35], v[20:21]
	v_fma_f64 v[156:157], v[192:193], s[20:21], v[200:201]
	v_add_f64 v[124:125], v[130:131], v[124:125]
	v_fma_f64 v[130:131], v[184:185], s[44:45], v[196:197]
	v_add_f64 v[30:31], v[150:151], v[30:31]
	v_mul_f64 v[12:13], v[190:191], s[52:53]
	v_fma_f64 v[8:9], v[162:163], s[24:25], -v[8:9]
	v_add_f64 v[0:1], v[22:23], v[0:1]
	v_mul_f64 v[204:205], v[204:205], s[38:39]
	v_add_f64 v[22:23], v[174:175], v[134:135]
	v_add_f64 v[2:3], v[32:33], v[2:3]
	;; [unrolled: 1-line block ×4, first 2 shown]
	v_mul_f64 v[228:229], v[180:181], s[38:39]
	v_add_f64 v[28:29], v[28:29], -v[168:169]
	v_add_f64 v[20:21], v[26:27], v[20:21]
	v_add_f64 v[36:37], v[156:157], v[124:125]
	v_fma_f64 v[124:125], v[192:193], s[52:53], v[200:201]
	v_add_f64 v[30:31], v[130:131], v[30:31]
	v_mul_f64 v[16:17], v[194:195], s[50:51]
	v_fma_f64 v[18:19], v[172:173], s[6:7], v[12:13]
	v_fma_f64 v[12:13], v[172:173], s[6:7], -v[12:13]
	v_add_f64 v[0:1], v[8:9], v[0:1]
	v_fma_f64 v[244:245], v[172:173], s[22:23], -v[244:245]
	v_add_f64 v[8:9], v[186:187], v[204:205]
	v_add_f64 v[22:23], v[22:23], v[2:3]
	;; [unrolled: 1-line block ×4, first 2 shown]
	v_add_f64 v[32:33], v[228:229], -v[182:183]
	v_add_f64 v[20:21], v[28:29], v[20:21]
	v_add_f64 v[30:31], v[124:125], v[30:31]
	v_fma_f64 v[26:27], v[180:181], s[2:3], -v[16:17]
	v_add_f64 v[0:1], v[12:13], v[0:1]
	v_add_f64 v[224:225], v[244:245], v[224:225]
	v_fma_f64 v[12:13], v[180:181], s[2:3], v[16:17]
	v_add_f64 v[16:17], v[18:19], v[10:11]
	v_add_f64 v[6:7], v[8:9], v[22:23]
	;; [unrolled: 1-line block ×9, first 2 shown]
	v_mul_lo_u16_e32 v16, 17, v254
	v_mov_b32_e32 v228, v253
	v_lshlrev_b32_e32 v16, 4, v16
	v_add_f64 v[14:15], v[242:243], v[36:37]
	ds_write_b128 v16, v[8:11]
	ds_write_b128 v16, v[4:7] offset:16
	ds_write_b128 v16, v[0:3] offset:32
	;; [unrolled: 1-line block ×16, first 2 shown]
.LBB0_7:
	s_or_b64 exec, exec, s[18:19]
	s_load_dwordx4 s[4:7], s[0:1], 0x0
	s_movk_i32 s0, 0xf1
	v_add_u16_e32 v6, 51, v254
	v_mul_lo_u16_sdwa v0, v254, s0 dst_sel:DWORD dst_unused:UNUSED_PAD src0_sel:BYTE_0 src1_sel:DWORD
	v_mul_lo_u16_sdwa v7, v6, s0 dst_sel:DWORD dst_unused:UNUSED_PAD src0_sel:BYTE_0 src1_sel:DWORD
	v_lshrrev_b16_e32 v97, 12, v0
	v_lshrrev_b16_e32 v99, 12, v7
	v_mul_lo_u16_e32 v0, 17, v97
	v_mul_lo_u16_e32 v1, 17, v99
	v_add_u16_e32 v4, 0x66, v254
	v_mov_b32_e32 v96, 4
	v_sub_u16_e32 v98, v254, v0
	v_sub_u16_e32 v1, v6, v1
	v_mul_lo_u16_sdwa v5, v4, s0 dst_sel:DWORD dst_unused:UNUSED_PAD src0_sel:BYTE_0 src1_sel:DWORD
	v_add_u16_e32 v2, 0x99, v254
	v_lshlrev_b32_sdwa v0, v96, v98 dst_sel:DWORD dst_unused:UNUSED_PAD src0_sel:DWORD src1_sel:BYTE_0
	v_and_b32_e32 v100, 0xff, v1
	v_lshrrev_b16_e32 v101, 12, v5
	v_mul_lo_u16_sdwa v3, v2, s0 dst_sel:DWORD dst_unused:UNUSED_PAD src0_sel:BYTE_0 src1_sel:DWORD
	s_waitcnt lgkmcnt(0)
	; wave barrier
	s_waitcnt lgkmcnt(0)
	v_lshlrev_b32_e32 v1, 4, v100
	global_load_dwordx4 v[117:120], v0, s[8:9]
	global_load_dwordx4 v[113:116], v1, s[8:9]
	v_mul_lo_u16_e32 v0, 17, v101
	v_lshrrev_b16_e32 v103, 12, v3
	v_sub_u16_e32 v0, v4, v0
	v_mul_lo_u16_e32 v1, 17, v103
	v_and_b32_e32 v102, 0xff, v0
	v_sub_u16_e32 v1, v2, v1
	v_lshlrev_b32_e32 v0, 4, v102
	v_and_b32_e32 v104, 0xff, v1
	v_lshlrev_b32_e32 v1, 4, v104
	global_load_dwordx4 v[125:128], v0, s[8:9]
	global_load_dwordx4 v[121:124], v1, s[8:9]
	v_add_u16_e32 v11, 0xcc, v254
	v_mul_lo_u16_sdwa v1, v11, s0 dst_sel:DWORD dst_unused:UNUSED_PAD src0_sel:BYTE_0 src1_sel:DWORD
	v_lshrrev_b16_e32 v105, 12, v1
	v_mul_lo_u16_e32 v0, 17, v105
	v_sub_u16_e32 v0, v11, v0
	v_add_u16_e32 v10, 0xff, v254
	v_and_b32_e32 v106, 0xff, v0
	v_mul_u32_u24_e32 v0, 0xf0f1, v10
	v_lshrrev_b32_e32 v107, 20, v0
	v_mul_lo_u16_e32 v9, 17, v107
	v_sub_u16_e32 v108, v10, v9
	v_lshlrev_b32_e32 v8, 4, v106
	v_lshlrev_b32_e32 v9, 4, v108
	global_load_dwordx4 v[133:136], v8, s[8:9]
	global_load_dwordx4 v[129:132], v9, s[8:9]
	v_add_u16_e32 v9, 0x132, v254
	v_mul_u32_u24_e32 v8, 0xf0f1, v9
	v_lshrrev_b32_e32 v109, 20, v8
	v_mul_lo_u16_e32 v8, 17, v109
	v_sub_u16_e32 v110, v9, v8
	v_add_u16_e32 v8, 0x165, v254
	v_mul_u32_u24_e32 v13, 0xf0f1, v8
	v_lshrrev_b32_e32 v111, 20, v13
	v_mul_lo_u16_e32 v13, 17, v111
	v_lshlrev_b32_e32 v12, 4, v110
	v_sub_u16_e32 v112, v8, v13
	global_load_dwordx4 v[137:140], v12, s[8:9]
	v_lshlrev_b32_e32 v12, 4, v112
	v_lshlrev_b32_sdwa v253, v96, v254 dst_sel:DWORD dst_unused:UNUSED_PAD src0_sel:DWORD src1_sel:WORD_0
	global_load_dwordx4 v[141:144], v12, s[8:9]
	ds_read_b128 v[12:15], v253
	ds_read_b128 v[16:19], v253 offset:816
	ds_read_b128 v[20:23], v253 offset:6528
	;; [unrolled: 1-line block ×15, first 2 shown]
	v_cmp_gt_u16_e64 s[0:1], 17, v254
                                        ; implicit-def: $vgpr148_vgpr149
	s_waitcnt vmcnt(7) lgkmcnt(13)
	v_mul_f64 v[80:81], v[22:23], v[119:120]
	s_waitcnt vmcnt(6) lgkmcnt(12)
	v_mul_f64 v[84:85], v[26:27], v[115:116]
	v_mul_f64 v[82:83], v[20:21], v[119:120]
	v_mul_f64 v[86:87], v[24:25], v[115:116]
	v_fma_f64 v[20:21], v[20:21], v[117:118], -v[80:81]
	buffer_store_dword v117, off, s[60:63], 0 offset:32 ; 4-byte Folded Spill
	s_nop 0
	buffer_store_dword v118, off, s[60:63], 0 offset:36 ; 4-byte Folded Spill
	buffer_store_dword v119, off, s[60:63], 0 offset:40 ; 4-byte Folded Spill
	buffer_store_dword v120, off, s[60:63], 0 offset:44 ; 4-byte Folded Spill
	s_waitcnt vmcnt(9) lgkmcnt(9)
	v_mul_f64 v[88:89], v[38:39], v[127:128]
	s_waitcnt vmcnt(8) lgkmcnt(8)
	v_mul_f64 v[92:93], v[42:43], v[123:124]
	v_fma_f64 v[24:25], v[24:25], v[113:114], -v[84:85]
	buffer_store_dword v113, off, s[60:63], 0 offset:16 ; 4-byte Folded Spill
	s_nop 0
	buffer_store_dword v114, off, s[60:63], 0 offset:20 ; 4-byte Folded Spill
	buffer_store_dword v115, off, s[60:63], 0 offset:24 ; 4-byte Folded Spill
	;; [unrolled: 1-line block ×3, first 2 shown]
	v_mul_f64 v[90:91], v[36:37], v[127:128]
	v_mul_f64 v[94:95], v[40:41], v[123:124]
	v_add_f64 v[20:21], v[12:13], -v[20:21]
	v_fma_f64 v[36:37], v[36:37], v[125:126], -v[88:89]
	buffer_store_dword v125, off, s[60:63], 0 offset:64 ; 4-byte Folded Spill
	s_nop 0
	buffer_store_dword v126, off, s[60:63], 0 offset:68 ; 4-byte Folded Spill
	buffer_store_dword v127, off, s[60:63], 0 offset:72 ; 4-byte Folded Spill
	;; [unrolled: 1-line block ×3, first 2 shown]
	v_fma_f64 v[40:41], v[40:41], v[121:122], -v[92:93]
	buffer_store_dword v121, off, s[60:63], 0 offset:48 ; 4-byte Folded Spill
	s_nop 0
	buffer_store_dword v122, off, s[60:63], 0 offset:52 ; 4-byte Folded Spill
	buffer_store_dword v123, off, s[60:63], 0 offset:56 ; 4-byte Folded Spill
	;; [unrolled: 1-line block ×3, first 2 shown]
	v_add_f64 v[24:25], v[16:17], -v[24:25]
	s_waitcnt vmcnt(19) lgkmcnt(5)
	v_mul_f64 v[80:81], v[54:55], v[135:136]
	s_waitcnt vmcnt(18) lgkmcnt(4)
	v_mul_f64 v[84:85], v[58:59], v[131:132]
	v_add_f64 v[36:37], v[28:29], -v[36:37]
	v_fma_f64 v[12:13], v[12:13], 2.0, -v[20:21]
	v_add_f64 v[40:41], v[32:33], -v[40:41]
	v_fma_f64 v[16:17], v[16:17], 2.0, -v[24:25]
	v_fma_f64 v[28:29], v[28:29], 2.0, -v[36:37]
	;; [unrolled: 1-line block ×3, first 2 shown]
	s_waitcnt vmcnt(17) lgkmcnt(1)
	v_mul_f64 v[88:89], v[70:71], v[139:140]
	s_waitcnt vmcnt(16) lgkmcnt(0)
	v_mul_f64 v[92:93], v[78:79], v[143:144]
	v_fma_f64 v[22:23], v[22:23], v[117:118], v[82:83]
	v_mul_f64 v[82:83], v[52:53], v[135:136]
	v_fma_f64 v[52:53], v[52:53], v[133:134], -v[80:81]
	buffer_store_dword v133, off, s[60:63], 0 offset:96 ; 4-byte Folded Spill
	s_nop 0
	buffer_store_dword v134, off, s[60:63], 0 offset:100 ; 4-byte Folded Spill
	buffer_store_dword v135, off, s[60:63], 0 offset:104 ; 4-byte Folded Spill
	;; [unrolled: 1-line block ×3, first 2 shown]
	v_fma_f64 v[26:27], v[26:27], v[113:114], v[86:87]
	v_mul_f64 v[86:87], v[56:57], v[131:132]
	v_fma_f64 v[56:57], v[56:57], v[129:130], -v[84:85]
	buffer_store_dword v129, off, s[60:63], 0 offset:80 ; 4-byte Folded Spill
	s_nop 0
	buffer_store_dword v130, off, s[60:63], 0 offset:84 ; 4-byte Folded Spill
	buffer_store_dword v131, off, s[60:63], 0 offset:88 ; 4-byte Folded Spill
	;; [unrolled: 1-line block ×3, first 2 shown]
	v_add_f64 v[22:23], v[14:15], -v[22:23]
	v_fma_f64 v[38:39], v[38:39], v[125:126], v[90:91]
	v_mul_f64 v[90:91], v[68:69], v[139:140]
	v_fma_f64 v[68:69], v[68:69], v[137:138], -v[88:89]
	buffer_store_dword v137, off, s[60:63], 0 offset:112 ; 4-byte Folded Spill
	s_nop 0
	buffer_store_dword v138, off, s[60:63], 0 offset:116 ; 4-byte Folded Spill
	buffer_store_dword v139, off, s[60:63], 0 offset:120 ; 4-byte Folded Spill
	;; [unrolled: 1-line block ×3, first 2 shown]
	v_fma_f64 v[42:43], v[42:43], v[121:122], v[94:95]
	v_mul_f64 v[94:95], v[76:77], v[143:144]
	v_fma_f64 v[76:77], v[76:77], v[141:142], -v[92:93]
	buffer_store_dword v141, off, s[60:63], 0 offset:128 ; 4-byte Folded Spill
	s_nop 0
	buffer_store_dword v142, off, s[60:63], 0 offset:132 ; 4-byte Folded Spill
	buffer_store_dword v143, off, s[60:63], 0 offset:136 ; 4-byte Folded Spill
	;; [unrolled: 1-line block ×3, first 2 shown]
	v_add_f64 v[26:27], v[18:19], -v[26:27]
	v_add_f64 v[38:39], v[30:31], -v[38:39]
	;; [unrolled: 1-line block ×3, first 2 shown]
	v_fma_f64 v[14:15], v[14:15], 2.0, -v[22:23]
	v_add_f64 v[42:43], v[34:35], -v[42:43]
	v_add_f64 v[56:57], v[48:49], -v[56:57]
	;; [unrolled: 1-line block ×4, first 2 shown]
	v_fma_f64 v[18:19], v[18:19], 2.0, -v[26:27]
	v_fma_f64 v[30:31], v[30:31], 2.0, -v[38:39]
	;; [unrolled: 1-line block ×3, first 2 shown]
	v_mad_legacy_u16 v76, v97, 34, v98
	v_fma_f64 v[34:35], v[34:35], 2.0, -v[42:43]
	v_lshlrev_b32_sdwa v229, v96, v76 dst_sel:DWORD dst_unused:UNUSED_PAD src0_sel:DWORD src1_sel:BYTE_0
	v_fma_f64 v[48:49], v[48:49], 2.0, -v[56:57]
	s_waitcnt lgkmcnt(0)
	; wave barrier
	ds_write_b128 v229, v[12:15]
	ds_write_b128 v229, v[20:23] offset:272
	v_mul_lo_u16_e32 v12, 34, v99
	v_and_b32_e32 v12, 0xfe, v12
	v_fma_f64 v[60:61], v[60:61], 2.0, -v[68:69]
	v_add_lshl_u32 v230, v12, v100, 4
	v_mul_u32_u24_e32 v12, 34, v101
	v_add_lshl_u32 v231, v12, v102, 4
	v_mul_u32_u24_e32 v12, 34, v103
	v_fma_f64 v[64:65], v[64:65], 2.0, -v[84:85]
	v_add_lshl_u32 v255, v12, v104, 4
	v_mul_u32_u24_e32 v12, 34, v105
	v_add_lshl_u32 v12, v12, v106, 4
	ds_write_b128 v230, v[16:19]
	ds_write_b128 v230, v[24:27] offset:272
	ds_write_b128 v231, v[28:31]
	ds_write_b128 v231, v[36:39] offset:272
	;; [unrolled: 2-line block ×3, first 2 shown]
	buffer_store_dword v12, off, s[60:63], 0 offset:144 ; 4-byte Folded Spill
	v_fma_f64 v[54:55], v[54:55], v[133:134], v[82:83]
	v_fma_f64 v[58:59], v[58:59], v[129:130], v[86:87]
	v_add_f64 v[54:55], v[46:47], -v[54:55]
	v_fma_f64 v[70:71], v[70:71], v[137:138], v[90:91]
	v_add_f64 v[58:59], v[50:51], -v[58:59]
	v_fma_f64 v[78:79], v[78:79], v[141:142], v[94:95]
	v_fma_f64 v[46:47], v[46:47], 2.0, -v[54:55]
	ds_write_b128 v12, v[52:55] offset:272
	v_add_f64 v[70:71], v[62:63], -v[70:71]
	v_fma_f64 v[50:51], v[50:51], 2.0, -v[58:59]
	v_add_f64 v[86:87], v[66:67], -v[78:79]
	ds_write_b128 v12, v[44:47]
	v_mad_legacy_u16 v12, v107, 34, v108
	v_fma_f64 v[62:63], v[62:63], 2.0, -v[70:71]
	v_lshlrev_b32_e32 v12, 4, v12
	ds_write_b128 v12, v[48:51]
	buffer_store_dword v12, off, s[60:63], 0 offset:148 ; 4-byte Folded Spill
	v_fma_f64 v[66:67], v[66:67], 2.0, -v[86:87]
	ds_write_b128 v12, v[56:59] offset:272
	v_mad_legacy_u16 v12, v109, 34, v110
	v_lshlrev_b32_e32 v12, 4, v12
	ds_write_b128 v12, v[60:63]
	buffer_store_dword v12, off, s[60:63], 0 offset:152 ; 4-byte Folded Spill
	ds_write_b128 v12, v[68:71] offset:272
	v_mad_legacy_u16 v12, v111, 34, v112
	v_lshlrev_b32_e32 v12, 4, v12
	ds_write_b128 v12, v[64:67]
	buffer_store_dword v12, off, s[60:63], 0 offset:156 ; 4-byte Folded Spill
	ds_write_b128 v12, v[84:87] offset:272
	s_waitcnt lgkmcnt(0)
	; wave barrier
	s_waitcnt lgkmcnt(0)
	ds_read_b128 v[104:107], v253
	ds_read_b128 v[100:103], v253 offset:816
	ds_read_b128 v[108:111], v253 offset:8704
	;; [unrolled: 1-line block ×14, first 2 shown]
	s_and_saveexec_b64 s[2:3], s[0:1]
	s_cbranch_execz .LBB0_9
; %bb.8:
	ds_read_b128 v[84:87], v253 offset:4080
	ds_read_b128 v[72:75], v253 offset:8432
	;; [unrolled: 1-line block ×3, first 2 shown]
.LBB0_9:
	s_or_b64 exec, exec, s[2:3]
	v_lshrrev_b16_e32 v51, 13, v7
	v_lshrrev_b16_e32 v53, 13, v5
	v_mul_lo_u16_e32 v7, 34, v51
	v_mul_lo_u16_e32 v5, 34, v53
	v_sub_u16_e32 v6, v6, v7
	v_sub_u16_e32 v4, v4, v5
	v_and_b32_e32 v52, 0xff, v6
	v_and_b32_e32 v54, 0xff, v4
	v_lshlrev_b32_e32 v6, 5, v52
	v_lshlrev_b32_e32 v4, 5, v54
	global_load_dwordx4 v[68:71], v6, s[8:9] offset:288
	global_load_dwordx4 v[76:79], v6, s[8:9] offset:272
	;; [unrolled: 1-line block ×4, first 2 shown]
	s_movk_i32 s2, 0xffde
	v_add_co_u32_e64 v12, s[2:3], s2, v254
	v_lshrrev_b16_e32 v55, 13, v3
	v_lshrrev_b16_e32 v57, 13, v1
	v_lshrrev_b32_e32 v0, 21, v0
	v_addc_co_u32_e64 v13, s[2:3], 0, -1, s[2:3]
	v_mul_lo_u16_e32 v3, 34, v55
	v_mul_lo_u16_e32 v1, 34, v57
	;; [unrolled: 1-line block ×3, first 2 shown]
	v_cmp_gt_u16_e64 s[2:3], 34, v254
	v_sub_u16_e32 v2, v2, v3
	v_sub_u16_e32 v1, v11, v1
	;; [unrolled: 1-line block ×3, first 2 shown]
	v_cndmask_b32_e64 v45, v13, 0, s[2:3]
	v_cndmask_b32_e64 v44, v12, v254, s[2:3]
	v_and_b32_e32 v56, 0xff, v2
	v_and_b32_e32 v58, 0xff, v1
	v_lshlrev_b16_e32 v0, 5, v59
	v_lshlrev_b64 v[12:13], 5, v[44:45]
	v_mov_b32_e32 v14, s9
	v_lshlrev_b32_e32 v2, 5, v56
	v_lshlrev_b32_e32 v1, 5, v58
	v_add_co_u32_e64 v0, s[2:3], s8, v0
	global_load_dwordx4 v[154:157], v2, s[8:9] offset:288
	global_load_dwordx4 v[162:165], v2, s[8:9] offset:272
	;; [unrolled: 1-line block ×4, first 2 shown]
	v_addc_co_u32_e64 v1, s[2:3], 0, v14, s[2:3]
	global_load_dwordx4 v[60:63], v[0:1], off offset:288
	global_load_dwordx4 v[64:67], v[0:1], off offset:272
	v_add_co_u32_e64 v0, s[2:3], s8, v12
	v_addc_co_u32_e64 v1, s[2:3], v14, v13, s[2:3]
	global_load_dwordx4 v[178:181], v[0:1], off offset:272
	global_load_dwordx4 v[174:177], v[0:1], off offset:288
	s_mov_b32 s2, 0xe8584caa
	s_mov_b32 s3, 0x3febb67a
	;; [unrolled: 1-line block ×4, first 2 shown]
	s_waitcnt vmcnt(11) lgkmcnt(11)
	v_mul_f64 v[4:5], v[126:127], v[70:71]
	s_waitcnt vmcnt(10) lgkmcnt(10)
	v_mul_f64 v[0:1], v[138:139], v[78:79]
	;; [unrolled: 2-line block ×3, first 2 shown]
	v_mul_f64 v[2:3], v[136:137], v[78:79]
	v_mul_f64 v[6:7], v[124:125], v[70:71]
	;; [unrolled: 1-line block ×3, first 2 shown]
	s_waitcnt lgkmcnt(6)
	v_mul_f64 v[16:17], v[142:143], v[82:83]
	v_mul_f64 v[18:19], v[140:141], v[82:83]
	v_fma_f64 v[124:125], v[124:125], v[68:69], -v[4:5]
	v_fma_f64 v[136:137], v[136:137], v[76:77], -v[0:1]
	buffer_store_dword v76, off, s[60:63], 0 offset:176 ; 4-byte Folded Spill
	s_nop 0
	buffer_store_dword v77, off, s[60:63], 0 offset:180 ; 4-byte Folded Spill
	buffer_store_dword v78, off, s[60:63], 0 offset:184 ; 4-byte Folded Spill
	;; [unrolled: 1-line block ×4, first 2 shown]
	s_nop 0
	buffer_store_dword v69, off, s[60:63], 0 offset:164 ; 4-byte Folded Spill
	buffer_store_dword v70, off, s[60:63], 0 offset:168 ; 4-byte Folded Spill
	;; [unrolled: 1-line block ×3, first 2 shown]
	v_fma_f64 v[128:129], v[128:129], v[158:159], -v[12:13]
	buffer_store_dword v158, off, s[60:63], 0 offset:224 ; 4-byte Folded Spill
	s_nop 0
	buffer_store_dword v159, off, s[60:63], 0 offset:228 ; 4-byte Folded Spill
	buffer_store_dword v160, off, s[60:63], 0 offset:232 ; 4-byte Folded Spill
	;; [unrolled: 1-line block ×3, first 2 shown]
	v_fma_f64 v[140:141], v[140:141], v[80:81], -v[16:17]
	buffer_store_dword v80, off, s[60:63], 0 offset:192 ; 4-byte Folded Spill
	s_nop 0
	buffer_store_dword v81, off, s[60:63], 0 offset:196 ; 4-byte Folded Spill
	buffer_store_dword v82, off, s[60:63], 0 offset:200 ; 4-byte Folded Spill
	buffer_store_dword v83, off, s[60:63], 0 offset:204 ; 4-byte Folded Spill
	s_waitcnt vmcnt(23) lgkmcnt(5)
	v_mul_f64 v[24:25], v[122:123], v[156:157]
	s_waitcnt vmcnt(22) lgkmcnt(2)
	v_mul_f64 v[20:21], v[146:147], v[164:165]
	;; [unrolled: 2-line block ×3, first 2 shown]
	v_mul_f64 v[22:23], v[144:145], v[164:165]
	v_mul_f64 v[26:27], v[120:121], v[156:157]
	;; [unrolled: 1-line block ×3, first 2 shown]
	s_waitcnt lgkmcnt(0)
	v_mul_f64 v[32:33], v[118:119], v[168:169]
	v_mul_f64 v[34:35], v[116:117], v[168:169]
	s_waitcnt vmcnt(18)
	v_mul_f64 v[36:37], v[74:75], v[66:67]
	s_waitcnt vmcnt(17)
	;; [unrolled: 2-line block ×3, first 2 shown]
	v_mul_f64 v[49:50], v[110:111], v[176:177]
	v_mul_f64 v[47:48], v[112:113], v[180:181]
	;; [unrolled: 1-line block ×3, first 2 shown]
	v_fma_f64 v[144:145], v[144:145], v[162:163], -v[20:21]
	buffer_store_dword v162, off, s[60:63], 0 offset:240 ; 4-byte Folded Spill
	s_nop 0
	buffer_store_dword v163, off, s[60:63], 0 offset:244 ; 4-byte Folded Spill
	buffer_store_dword v164, off, s[60:63], 0 offset:248 ; 4-byte Folded Spill
	;; [unrolled: 1-line block ×3, first 2 shown]
	v_mul_f64 v[40:41], v[150:151], v[62:63]
	v_mul_f64 v[38:39], v[72:73], v[66:67]
	v_fma_f64 v[12:13], v[112:113], v[178:179], -v[45:46]
	v_fma_f64 v[45:46], v[120:121], v[154:155], -v[24:25]
	buffer_store_dword v154, off, s[60:63], 0 offset:208 ; 4-byte Folded Spill
	s_nop 0
	buffer_store_dword v155, off, s[60:63], 0 offset:212 ; 4-byte Folded Spill
	buffer_store_dword v156, off, s[60:63], 0 offset:216 ; 4-byte Folded Spill
	;; [unrolled: 1-line block ×3, first 2 shown]
	v_mul_f64 v[42:43], v[148:149], v[62:63]
	v_fma_f64 v[0:1], v[72:73], v[64:65], -v[36:37]
	v_add_f64 v[20:21], v[104:105], v[12:13]
	v_fma_f64 v[138:139], v[138:139], v[76:77], v[2:3]
	v_fma_f64 v[2:3], v[148:149], v[60:61], -v[40:41]
	v_fma_f64 v[126:127], v[126:127], v[68:69], v[6:7]
	v_fma_f64 v[130:131], v[130:131], v[158:159], v[14:15]
	v_fma_f64 v[14:15], v[108:109], v[174:175], -v[49:50]
	v_fma_f64 v[108:109], v[132:133], v[170:171], -v[28:29]
	buffer_store_dword v170, off, s[60:63], 0 offset:272 ; 4-byte Folded Spill
	s_nop 0
	buffer_store_dword v171, off, s[60:63], 0 offset:276 ; 4-byte Folded Spill
	buffer_store_dword v172, off, s[60:63], 0 offset:280 ; 4-byte Folded Spill
	buffer_store_dword v173, off, s[60:63], 0 offset:284 ; 4-byte Folded Spill
	buffer_store_dword v178, off, s[60:63], 0 offset:304 ; 4-byte Folded Spill
	s_nop 0
	buffer_store_dword v179, off, s[60:63], 0 offset:308 ; 4-byte Folded Spill
	buffer_store_dword v180, off, s[60:63], 0 offset:312 ; 4-byte Folded Spill
	buffer_store_dword v181, off, s[60:63], 0 offset:316 ; 4-byte Folded Spill
	;; [unrolled: 5-line block ×3, first 2 shown]
	v_fma_f64 v[142:143], v[142:143], v[80:81], v[18:19]
	v_add_f64 v[36:37], v[138:139], -v[126:127]
	v_add_f64 v[40:41], v[136:137], -v[124:125]
	v_add_f64 v[6:7], v[12:13], v[14:15]
	v_add_f64 v[120:121], v[0:1], -v[2:3]
	v_add_f64 v[72:73], v[130:131], v[142:143]
	v_fma_f64 v[146:147], v[146:147], v[162:163], v[22:23]
	v_fma_f64 v[49:50], v[122:123], v[154:155], v[26:27]
	v_fma_f64 v[26:27], v[6:7], -0.5, v[104:105]
	v_fma_f64 v[112:113], v[134:135], v[170:171], v[30:31]
	v_fma_f64 v[16:17], v[114:115], v[178:179], v[47:48]
	v_fma_f64 v[47:48], v[116:117], v[166:167], -v[32:33]
	buffer_store_dword v166, off, s[60:63], 0 offset:256 ; 4-byte Folded Spill
	s_nop 0
	buffer_store_dword v167, off, s[60:63], 0 offset:260 ; 4-byte Folded Spill
	buffer_store_dword v168, off, s[60:63], 0 offset:264 ; 4-byte Folded Spill
	buffer_store_dword v169, off, s[60:63], 0 offset:268 ; 4-byte Folded Spill
	buffer_store_dword v64, off, s[60:63], 0 offset:392 ; 4-byte Folded Spill
	s_nop 0
	buffer_store_dword v65, off, s[60:63], 0 offset:396 ; 4-byte Folded Spill
	buffer_store_dword v66, off, s[60:63], 0 offset:400 ; 4-byte Folded Spill
	buffer_store_dword v67, off, s[60:63], 0 offset:404 ; 4-byte Folded Spill
	;; [unrolled: 5-line block ×3, first 2 shown]
	v_fma_f64 v[18:19], v[110:111], v[174:175], v[152:153]
	v_add_f64 v[30:31], v[100:101], v[136:137]
	v_add_f64 v[32:33], v[136:137], v[124:125]
	;; [unrolled: 1-line block ×4, first 2 shown]
	v_add_f64 v[116:117], v[144:145], -v[45:46]
	v_add_f64 v[22:23], v[16:17], v[18:19]
	v_add_f64 v[24:25], v[16:17], -v[18:19]
	v_fma_f64 v[32:33], v[32:33], -0.5, v[100:101]
	v_add_f64 v[100:101], v[128:129], -v[140:141]
	v_fma_f64 v[22:23], v[22:23], -0.5, v[106:107]
	v_fma_f64 v[16:17], v[24:25], s[2:3], v[26:27]
	v_add_f64 v[106:107], v[146:147], -v[49:50]
	v_fma_f64 v[110:111], v[118:119], v[166:167], v[34:35]
	v_add_f64 v[34:35], v[12:13], -v[14:15]
	v_add_f64 v[12:13], v[20:21], v[14:15]
	v_fma_f64 v[20:21], v[24:25], s[10:11], v[26:27]
	v_add_f64 v[26:27], v[138:139], v[126:127]
	v_add_f64 v[24:25], v[30:31], v[124:125]
	;; [unrolled: 1-line block ×3, first 2 shown]
	v_fma_f64 v[4:5], v[74:75], v[64:65], v[38:39]
	v_fma_f64 v[6:7], v[150:151], v[60:61], v[42:43]
	v_add_f64 v[14:15], v[28:29], v[18:19]
	v_fma_f64 v[18:19], v[34:35], s[10:11], v[22:23]
	v_fma_f64 v[22:23], v[34:35], s[2:3], v[22:23]
	v_add_f64 v[34:35], v[102:103], v[138:139]
	v_fma_f64 v[38:39], v[26:27], -0.5, v[102:103]
	v_add_f64 v[42:43], v[96:97], v[128:129]
	v_fma_f64 v[74:75], v[30:31], -0.5, v[96:97]
	v_add_f64 v[96:97], v[130:131], -v[142:143]
	v_fma_f64 v[28:29], v[36:37], s[2:3], v[32:33]
	v_fma_f64 v[32:33], v[36:37], s[10:11], v[32:33]
	v_add_f64 v[102:103], v[146:147], v[49:50]
	v_add_f64 v[26:27], v[34:35], v[126:127]
	v_fma_f64 v[30:31], v[40:41], s[10:11], v[38:39]
	v_fma_f64 v[34:35], v[40:41], s[2:3], v[38:39]
	v_add_f64 v[36:37], v[42:43], v[140:141]
	v_add_f64 v[38:39], v[144:145], v[45:46]
	;; [unrolled: 1-line block ×3, first 2 shown]
	v_fma_f64 v[98:99], v[72:73], -0.5, v[98:99]
	v_fma_f64 v[40:41], v[96:97], s[2:3], v[74:75]
	v_fma_f64 v[72:73], v[96:97], s[10:11], v[74:75]
	v_add_f64 v[96:97], v[92:93], v[144:145]
	v_fma_f64 v[102:103], v[102:103], -0.5, v[94:95]
	v_add_f64 v[94:95], v[114:115], v[49:50]
	v_fma_f64 v[104:105], v[38:39], -0.5, v[92:93]
	v_add_f64 v[38:39], v[42:43], v[142:143]
	v_fma_f64 v[42:43], v[100:101], s[10:11], v[98:99]
	v_fma_f64 v[74:75], v[100:101], s[2:3], v[98:99]
	v_add_f64 v[49:50], v[112:113], v[110:111]
	v_add_f64 v[92:93], v[96:97], v[45:46]
	v_add_f64 v[45:46], v[88:89], v[108:109]
	v_add_f64 v[114:115], v[0:1], v[2:3]
	v_fma_f64 v[96:97], v[106:107], s[2:3], v[104:105]
	v_fma_f64 v[100:101], v[106:107], s[10:11], v[104:105]
	v_add_f64 v[106:107], v[108:109], v[47:48]
	v_fma_f64 v[98:99], v[116:117], s[10:11], v[102:103]
	v_fma_f64 v[102:103], v[116:117], s[2:3], v[102:103]
	v_add_f64 v[116:117], v[112:113], -v[110:111]
	v_add_f64 v[104:105], v[45:46], v[47:48]
	v_add_f64 v[45:46], v[4:5], v[6:7]
	;; [unrolled: 1-line block ×3, first 2 shown]
	v_fma_f64 v[49:50], v[49:50], -0.5, v[90:91]
	v_fma_f64 v[106:107], v[106:107], -0.5, v[88:89]
	v_add_f64 v[47:48], v[108:109], -v[47:48]
	v_fma_f64 v[114:115], v[114:115], -0.5, v[84:85]
	v_add_f64 v[118:119], v[4:5], -v[6:7]
	v_fma_f64 v[45:46], v[45:46], -0.5, v[86:87]
	v_fma_f64 v[88:89], v[116:117], s[2:3], v[106:107]
	v_fma_f64 v[108:109], v[116:117], s[10:11], v[106:107]
	v_add_f64 v[106:107], v[112:113], v[110:111]
	v_fma_f64 v[90:91], v[47:48], s[10:11], v[49:50]
	v_fma_f64 v[110:111], v[47:48], s[2:3], v[49:50]
	;; [unrolled: 1-line block ×6, first 2 shown]
	v_mov_b32_e32 v45, 0x66
	v_cmp_lt_u16_e64 s[2:3], 33, v254
	v_cndmask_b32_e64 v45, 0, v45, s[2:3]
	v_add_lshl_u32 v44, v44, v45, 4
	buffer_store_dword v47, off, s[60:63], 0 ; 4-byte Folded Spill
	s_nop 0
	buffer_store_dword v48, off, s[60:63], 0 offset:4 ; 4-byte Folded Spill
	buffer_store_dword v49, off, s[60:63], 0 offset:8 ; 4-byte Folded Spill
	;; [unrolled: 1-line block ×3, first 2 shown]
	s_waitcnt lgkmcnt(0)
	; wave barrier
	ds_write_b128 v44, v[12:15]
	ds_write_b128 v44, v[16:19] offset:544
	v_mul_u32_u24_e32 v12, 0x66, v51
	v_add_lshl_u32 v12, v12, v52, 4
	buffer_store_dword v44, off, s[60:63], 0 offset:320 ; 4-byte Folded Spill
	ds_write_b128 v44, v[20:23] offset:1088
	ds_write_b128 v12, v[24:27]
	ds_write_b128 v12, v[28:31] offset:544
	buffer_store_dword v12, off, s[60:63], 0 offset:324 ; 4-byte Folded Spill
	ds_write_b128 v12, v[32:35] offset:1088
	v_mul_u32_u24_e32 v12, 0x66, v53
	v_add_lshl_u32 v12, v12, v54, 4
	ds_write_b128 v12, v[36:39]
	ds_write_b128 v12, v[40:43] offset:544
	buffer_store_dword v12, off, s[60:63], 0 offset:328 ; 4-byte Folded Spill
	ds_write_b128 v12, v[72:75] offset:1088
	v_mul_u32_u24_e32 v12, 0x66, v55
	v_add_lshl_u32 v12, v12, v56, 4
	;; [unrolled: 6-line block ×3, first 2 shown]
	v_lshlrev_b32_e32 v97, 4, v59
	ds_write_b128 v12, v[104:107]
	ds_write_b128 v12, v[88:91] offset:544
	buffer_store_dword v12, off, s[60:63], 0 offset:340 ; 4-byte Folded Spill
	ds_write_b128 v12, v[108:111] offset:1088
	s_and_saveexec_b64 s[2:3], s[0:1]
	s_cbranch_execz .LBB0_11
; %bb.10:
	v_add_f64 v[4:5], v[86:87], v[4:5]
	v_add_f64 v[0:1], v[84:85], v[0:1]
	;; [unrolled: 1-line block ×4, first 2 shown]
	ds_write_b128 v97, v[152:155] offset:11968
	ds_write_b128 v97, v[2:5] offset:11424
	buffer_load_dword v0, off, s[60:63], 0  ; 4-byte Folded Reload
	buffer_load_dword v1, off, s[60:63], 0 offset:4 ; 4-byte Folded Reload
	buffer_load_dword v2, off, s[60:63], 0 offset:8 ; 4-byte Folded Reload
	;; [unrolled: 1-line block ×3, first 2 shown]
	s_waitcnt vmcnt(0)
	ds_write_b128 v97, v[0:3] offset:12512
.LBB0_11:
	s_or_b64 exec, exec, s[2:3]
	s_waitcnt lgkmcnt(0)
	; wave barrier
	s_waitcnt lgkmcnt(0)
	ds_read_b128 v[132:135], v253
	ds_read_b128 v[4:7], v253 offset:6528
	ds_read_b128 v[128:131], v253 offset:816
	;; [unrolled: 1-line block ×15, first 2 shown]
	global_load_dwordx4 v[84:87], v252, s[8:9] offset:1360
	global_load_dwordx4 v[88:91], v252, s[8:9] offset:2176
	v_add_co_u32_e64 v2, s[2:3], s8, v252
	v_mov_b32_e32 v0, s9
	v_addc_co_u32_e64 v3, s[2:3], 0, v0, s[2:3]
	s_movk_i32 s2, 0xa1
	s_movk_i32 s16, 0x1000
	;; [unrolled: 1-line block ×3, first 2 shown]
	s_waitcnt vmcnt(1) lgkmcnt(14)
	v_mul_f64 v[0:1], v[6:7], v[86:87]
	v_fma_f64 v[0:1], v[4:5], v[84:85], -v[0:1]
	v_mul_f64 v[4:5], v[4:5], v[86:87]
	v_fma_f64 v[6:7], v[6:7], v[84:85], v[4:5]
	s_waitcnt vmcnt(0) lgkmcnt(12)
	v_mul_f64 v[4:5], v[14:15], v[90:91]
	v_add_f64 v[6:7], v[134:135], -v[6:7]
	v_fma_f64 v[36:37], v[12:13], v[88:89], -v[4:5]
	v_mul_f64 v[4:5], v[12:13], v[90:91]
	v_fma_f64 v[14:15], v[14:15], v[88:89], v[4:5]
	s_waitcnt lgkmcnt(10)
	v_mul_f64 v[4:5], v[18:19], v[86:87]
	v_add_f64 v[14:15], v[130:131], -v[14:15]
	v_fma_f64 v[38:39], v[16:17], v[84:85], -v[4:5]
	v_mul_f64 v[4:5], v[16:17], v[86:87]
	v_fma_f64 v[40:41], v[18:19], v[84:85], v[4:5]
	s_waitcnt lgkmcnt(8)
	v_mul_f64 v[4:5], v[22:23], v[90:91]
	v_fma_f64 v[42:43], v[20:21], v[88:89], -v[4:5]
	v_mul_f64 v[4:5], v[20:21], v[90:91]
	v_add_f64 v[20:21], v[72:73], -v[38:39]
	v_fma_f64 v[44:45], v[22:23], v[88:89], v[4:5]
	v_mul_lo_u16_sdwa v4, v11, s2 dst_sel:DWORD dst_unused:UNUSED_PAD src0_sel:BYTE_0 src1_sel:DWORD
	v_lshrrev_b16_e32 v4, 14, v4
	v_mul_lo_u16_e32 v4, 0x66, v4
	v_sub_u16_e32 v4, v11, v4
	v_mov_b32_e32 v5, 4
	v_lshlrev_b32_sdwa v96, v5, v4 dst_sel:DWORD dst_unused:UNUSED_PAD src0_sel:DWORD src1_sel:BYTE_0
	global_load_dwordx4 v[16:19], v96, s[8:9] offset:1360
	v_add_f64 v[22:23], v[74:75], -v[40:41]
	s_waitcnt vmcnt(0) lgkmcnt(6)
	v_mul_f64 v[4:5], v[26:27], v[18:19]
	v_fma_f64 v[46:47], v[24:25], v[16:17], -v[4:5]
	v_mul_f64 v[4:5], v[24:25], v[18:19]
	buffer_store_dword v16, off, s[60:63], 0 offset:344 ; 4-byte Folded Spill
	s_nop 0
	buffer_store_dword v17, off, s[60:63], 0 offset:348 ; 4-byte Folded Spill
	buffer_store_dword v18, off, s[60:63], 0 offset:352 ; 4-byte Folded Spill
	;; [unrolled: 1-line block ×3, first 2 shown]
	v_fma_f64 v[24:25], v[72:73], 2.0, -v[20:21]
	v_fma_f64 v[18:19], v[130:131], 2.0, -v[14:15]
	v_fma_f64 v[48:49], v[26:27], v[16:17], v[4:5]
	v_mul_u32_u24_e32 v4, 0xa0a1, v10
	v_lshrrev_b32_e32 v4, 22, v4
	v_mul_lo_u16_e32 v4, 0x66, v4
	v_sub_u16_e32 v4, v10, v4
	v_lshlrev_b32_e32 v98, 4, v4
	global_load_dwordx4 v[10:13], v98, s[8:9] offset:1360
	v_fma_f64 v[26:27], v[74:75], 2.0, -v[22:23]
	v_add_f64 v[38:39], v[122:123], -v[48:49]
	s_waitcnt vmcnt(0) lgkmcnt(4)
	v_mul_f64 v[4:5], v[30:31], v[12:13]
	v_fma_f64 v[50:51], v[28:29], v[10:11], -v[4:5]
	v_mul_f64 v[4:5], v[28:29], v[12:13]
	buffer_store_dword v10, off, s[60:63], 0 offset:360 ; 4-byte Folded Spill
	s_nop 0
	buffer_store_dword v11, off, s[60:63], 0 offset:364 ; 4-byte Folded Spill
	buffer_store_dword v12, off, s[60:63], 0 offset:368 ; 4-byte Folded Spill
	;; [unrolled: 1-line block ×3, first 2 shown]
	v_add_f64 v[28:29], v[124:125], -v[42:43]
	v_add_f64 v[12:13], v[128:129], -v[36:37]
	;; [unrolled: 1-line block ×3, first 2 shown]
	v_fma_f64 v[42:43], v[122:123], 2.0, -v[38:39]
	v_add_f64 v[72:73], v[116:117], -v[50:51]
	v_fma_f64 v[16:17], v[128:129], 2.0, -v[12:13]
	v_fma_f64 v[40:41], v[120:121], 2.0, -v[36:37]
	;; [unrolled: 1-line block ×3, first 2 shown]
	v_fma_f64 v[140:141], v[30:31], v[10:11], v[4:5]
	v_mul_u32_u24_e32 v4, 0xa0a1, v9
	v_lshrrev_b32_e32 v4, 22, v4
	v_mul_lo_u16_e32 v4, 0x66, v4
	v_sub_u16_e32 v4, v9, v4
	v_lshlrev_b32_e32 v99, 4, v4
	global_load_dwordx4 v[100:103], v99, s[8:9] offset:1360
	v_add_f64 v[30:31], v[126:127], -v[44:45]
	v_fma_f64 v[10:11], v[134:135], 2.0, -v[6:7]
	v_add_f64 v[74:75], v[118:119], -v[140:141]
	v_fma_f64 v[118:119], v[118:119], 2.0, -v[74:75]
	s_waitcnt vmcnt(0) lgkmcnt(2)
	v_mul_f64 v[4:5], v[34:35], v[102:103]
	v_fma_f64 v[142:143], v[32:33], v[100:101], -v[4:5]
	v_mul_f64 v[4:5], v[32:33], v[102:103]
	v_fma_f64 v[32:33], v[124:125], 2.0, -v[28:29]
	v_add_f64 v[120:121], v[112:113], -v[142:143]
	v_fma_f64 v[144:145], v[34:35], v[100:101], v[4:5]
	v_mul_u32_u24_e32 v4, 0xa0a1, v8
	v_lshrrev_b32_e32 v4, 22, v4
	v_mul_lo_u16_e32 v4, 0x66, v4
	v_sub_u16_e32 v4, v8, v4
	v_lshlrev_b32_e32 v52, 4, v4
	global_load_dwordx4 v[104:107], v52, s[8:9] offset:1360
	v_fma_f64 v[34:35], v[126:127], 2.0, -v[30:31]
	v_add_f64 v[122:123], v[114:115], -v[144:145]
	v_fma_f64 v[112:113], v[112:113], 2.0, -v[120:121]
	s_waitcnt lgkmcnt(0)
	; wave barrier
	s_waitcnt lgkmcnt(0)
	v_fma_f64 v[114:115], v[114:115], 2.0, -v[122:123]
	s_waitcnt vmcnt(0)
	v_mul_f64 v[4:5], v[138:139], v[106:107]
	v_fma_f64 v[146:147], v[136:137], v[104:105], -v[4:5]
	v_mul_f64 v[4:5], v[136:137], v[106:107]
	v_add_f64 v[124:125], v[108:109], -v[146:147]
	v_fma_f64 v[136:137], v[138:139], v[104:105], v[4:5]
	v_add_f64 v[4:5], v[132:133], -v[0:1]
	v_fma_f64 v[108:109], v[108:109], 2.0, -v[124:125]
	v_add_f64 v[126:127], v[110:111], -v[136:137]
	v_fma_f64 v[8:9], v[132:133], 2.0, -v[4:5]
	v_fma_f64 v[110:111], v[110:111], 2.0, -v[126:127]
	ds_write_b128 v253, v[8:11]
	ds_write_b128 v253, v[4:7] offset:1632
	ds_write_b128 v253, v[16:19] offset:816
	;; [unrolled: 1-line block ×14, first 2 shown]
	buffer_store_dword v52, off, s[60:63], 0 offset:336 ; 4-byte Folded Spill
	ds_write_b128 v52, v[124:127] offset:11424
	s_waitcnt lgkmcnt(0)
	; wave barrier
	s_waitcnt lgkmcnt(0)
	ds_read_b128 v[4:7], v253
	ds_read_b128 v[8:11], v253 offset:6528
	ds_read_b128 v[12:15], v253 offset:816
	;; [unrolled: 1-line block ×15, first 2 shown]
	global_load_dwordx4 v[108:111], v252, s[8:9] offset:2992
	global_load_dwordx4 v[112:115], v252, s[8:9] offset:3808
	s_waitcnt vmcnt(1) lgkmcnt(14)
	v_mul_f64 v[0:1], v[10:11], v[110:111]
	s_waitcnt vmcnt(0) lgkmcnt(4)
	v_mul_f64 v[46:47], v[124:125], v[114:115]
	v_fma_f64 v[44:45], v[8:9], v[108:109], -v[0:1]
	v_mul_f64 v[0:1], v[8:9], v[110:111]
	v_fma_f64 v[46:47], v[126:127], v[112:113], v[46:47]
	v_add_f64 v[176:177], v[4:5], -v[44:45]
	v_fma_f64 v[8:9], v[10:11], v[108:109], v[0:1]
	v_mul_f64 v[0:1], v[18:19], v[114:115]
	v_fma_f64 v[4:5], v[4:5], 2.0, -v[176:177]
	v_add_f64 v[178:179], v[6:7], -v[8:9]
	v_fma_f64 v[10:11], v[16:17], v[112:113], -v[0:1]
	v_mul_f64 v[0:1], v[16:17], v[114:115]
	v_fma_f64 v[6:7], v[6:7], 2.0, -v[178:179]
	v_add_f64 v[172:173], v[12:13], -v[10:11]
	v_fma_f64 v[16:17], v[18:19], v[112:113], v[0:1]
	v_add_co_u32_e64 v0, s[2:3], s16, v2
	v_addc_co_u32_e64 v1, s[2:3], 0, v3, s[2:3]
	global_load_dwordx4 v[116:119], v[0:1], off offset:528
	global_load_dwordx4 v[120:123], v[0:1], off offset:1344
	v_fma_f64 v[180:181], v[12:13], 2.0, -v[172:173]
	v_add_f64 v[174:175], v[14:15], -v[16:17]
	s_waitcnt lgkmcnt(0)
	; wave barrier
	s_waitcnt lgkmcnt(0)
	v_add_co_u32_e64 v2, s[2:3], s17, v2
	v_addc_co_u32_e64 v3, s[2:3], 0, v3, s[2:3]
	v_fma_f64 v[182:183], v[14:15], 2.0, -v[174:175]
	s_waitcnt vmcnt(1)
	v_mul_f64 v[18:19], v[26:27], v[118:119]
	v_mul_f64 v[48:49], v[134:135], v[118:119]
	;; [unrolled: 1-line block ×3, first 2 shown]
	v_fma_f64 v[18:19], v[24:25], v[116:117], -v[18:19]
	v_mul_f64 v[24:25], v[24:25], v[118:119]
	v_fma_f64 v[48:49], v[132:133], v[116:117], -v[48:49]
	v_fma_f64 v[50:51], v[134:135], v[116:117], v[50:51]
	v_add_f64 v[134:135], v[74:75], -v[46:47]
	v_add_f64 v[160:161], v[20:21], -v[18:19]
	v_fma_f64 v[24:25], v[26:27], v[116:117], v[24:25]
	s_waitcnt vmcnt(0)
	v_mul_f64 v[26:27], v[34:35], v[122:123]
	v_fma_f64 v[146:147], v[74:75], 2.0, -v[134:135]
	v_fma_f64 v[168:169], v[20:21], 2.0, -v[160:161]
	v_add_f64 v[162:163], v[22:23], -v[24:25]
	v_fma_f64 v[26:27], v[32:33], v[120:121], -v[26:27]
	v_mul_f64 v[32:33], v[32:33], v[122:123]
	v_fma_f64 v[170:171], v[22:23], 2.0, -v[162:163]
	v_add_f64 v[148:149], v[28:29], -v[26:27]
	v_fma_f64 v[32:33], v[34:35], v[120:121], v[32:33]
	v_mul_f64 v[34:35], v[42:43], v[110:111]
	v_fma_f64 v[164:165], v[28:29], 2.0, -v[148:149]
	v_add_f64 v[150:151], v[30:31], -v[32:33]
	v_fma_f64 v[34:35], v[40:41], v[108:109], -v[34:35]
	v_mul_f64 v[40:41], v[40:41], v[110:111]
	v_fma_f64 v[166:167], v[30:31], 2.0, -v[150:151]
	v_add_f64 v[140:141], v[36:37], -v[34:35]
	v_fma_f64 v[40:41], v[42:43], v[108:109], v[40:41]
	v_mul_f64 v[42:43], v[126:127], v[114:115]
	v_add_f64 v[126:127], v[130:131], -v[50:51]
	v_fma_f64 v[156:157], v[36:37], 2.0, -v[140:141]
	v_add_f64 v[142:143], v[38:39], -v[40:41]
	v_fma_f64 v[42:43], v[124:125], v[112:113], -v[42:43]
	v_mul_f64 v[124:125], v[138:139], v[122:123]
	v_fma_f64 v[158:159], v[38:39], 2.0, -v[142:143]
	v_add_f64 v[132:133], v[72:73], -v[42:43]
	v_fma_f64 v[188:189], v[136:137], v[120:121], -v[124:125]
	v_mul_f64 v[124:125], v[136:137], v[122:123]
	v_fma_f64 v[144:145], v[72:73], 2.0, -v[132:133]
	v_add_f64 v[72:73], v[184:185], -v[188:189]
	v_fma_f64 v[190:191], v[138:139], v[120:121], v[124:125]
	v_add_f64 v[124:125], v[128:129], -v[48:49]
	v_fma_f64 v[138:139], v[130:131], 2.0, -v[126:127]
	v_add_f64 v[74:75], v[186:187], -v[190:191]
	v_fma_f64 v[136:137], v[128:129], 2.0, -v[124:125]
	v_fma_f64 v[128:129], v[184:185], 2.0, -v[72:73]
	;; [unrolled: 1-line block ×3, first 2 shown]
	ds_write_b128 v253, v[4:7]
	ds_write_b128 v253, v[176:179] offset:3264
	ds_write_b128 v253, v[180:183] offset:816
	;; [unrolled: 1-line block ×15, first 2 shown]
	s_waitcnt lgkmcnt(0)
	; wave barrier
	s_waitcnt lgkmcnt(0)
	ds_read_b128 v[160:163], v253
	ds_read_b128 v[4:7], v253 offset:6528
	ds_read_b128 v[164:167], v253 offset:816
	;; [unrolled: 1-line block ×15, first 2 shown]
	global_load_dwordx4 v[124:127], v[0:1], off offset:2160
	global_load_dwordx4 v[128:131], v[0:1], off offset:2976
	;; [unrolled: 1-line block ×8, first 2 shown]
	s_waitcnt vmcnt(7) lgkmcnt(14)
	v_mul_f64 v[32:33], v[6:7], v[126:127]
	s_waitcnt vmcnt(5) lgkmcnt(10)
	v_mul_f64 v[0:1], v[14:15], v[134:135]
	s_waitcnt vmcnt(0) lgkmcnt(0)
	v_mul_f64 v[2:3], v[174:175], v[158:159]
	v_fma_f64 v[32:33], v[4:5], v[124:125], -v[32:33]
	v_mul_f64 v[4:5], v[4:5], v[126:127]
	v_fma_f64 v[0:1], v[12:13], v[132:133], -v[0:1]
	v_fma_f64 v[2:3], v[172:173], v[156:157], -v[2:3]
	v_add_f64 v[180:181], v[160:161], -v[32:33]
	v_fma_f64 v[4:5], v[6:7], v[124:125], v[4:5]
	v_mul_f64 v[6:7], v[10:11], v[130:131]
	v_add_f64 v[216:217], v[220:221], -v[2:3]
	v_fma_f64 v[160:161], v[160:161], 2.0, -v[180:181]
	v_add_f64 v[182:183], v[162:163], -v[4:5]
	v_fma_f64 v[6:7], v[8:9], v[128:129], -v[6:7]
	v_mul_f64 v[8:9], v[8:9], v[130:131]
	v_fma_f64 v[220:221], v[220:221], 2.0, -v[216:217]
	v_fma_f64 v[162:163], v[162:163], 2.0, -v[182:183]
	v_add_f64 v[184:185], v[164:165], -v[6:7]
	v_fma_f64 v[8:9], v[10:11], v[128:129], v[8:9]
	v_mul_f64 v[10:11], v[12:13], v[134:135]
	v_mul_f64 v[12:13], v[18:19], v[138:139]
	v_fma_f64 v[188:189], v[164:165], 2.0, -v[184:185]
	v_add_f64 v[186:187], v[166:167], -v[8:9]
	v_fma_f64 v[10:11], v[14:15], v[132:133], v[10:11]
	v_fma_f64 v[12:13], v[16:17], v[136:137], -v[12:13]
	v_mul_f64 v[14:15], v[16:17], v[138:139]
	v_mul_f64 v[16:17], v[22:23], v[142:143]
	v_add_f64 v[164:165], v[168:169], -v[0:1]
	v_fma_f64 v[190:191], v[166:167], 2.0, -v[186:187]
	v_add_f64 v[166:167], v[170:171], -v[10:11]
	v_fma_f64 v[14:15], v[18:19], v[136:137], v[14:15]
	v_fma_f64 v[16:17], v[20:21], v[140:141], -v[16:17]
	v_mul_f64 v[18:19], v[20:21], v[142:143]
	v_mul_f64 v[20:21], v[26:27], v[146:147]
	v_fma_f64 v[168:169], v[168:169], 2.0, -v[164:165]
	v_fma_f64 v[170:171], v[170:171], 2.0, -v[166:167]
	v_add_f64 v[192:193], v[196:197], -v[16:17]
	v_fma_f64 v[18:19], v[22:23], v[140:141], v[18:19]
	v_fma_f64 v[20:21], v[24:25], v[144:145], -v[20:21]
	v_mul_f64 v[22:23], v[24:25], v[146:147]
	v_mul_f64 v[24:25], v[30:31], v[150:151]
	v_fma_f64 v[196:197], v[196:197], 2.0, -v[192:193]
	v_add_f64 v[194:195], v[198:199], -v[18:19]
	v_add_f64 v[200:201], v[72:73], -v[20:21]
	v_fma_f64 v[22:23], v[26:27], v[144:145], v[22:23]
	v_fma_f64 v[24:25], v[28:29], v[148:149], -v[24:25]
	v_mul_f64 v[26:27], v[28:29], v[150:151]
	v_mul_f64 v[28:29], v[172:173], v[158:159]
	v_add_f64 v[172:173], v[176:177], -v[12:13]
	v_fma_f64 v[198:199], v[198:199], 2.0, -v[194:195]
	v_fma_f64 v[204:205], v[72:73], 2.0, -v[200:201]
	v_add_f64 v[202:203], v[74:75], -v[22:23]
	v_add_f64 v[208:209], v[212:213], -v[24:25]
	v_fma_f64 v[26:27], v[30:31], v[148:149], v[26:27]
	v_fma_f64 v[28:29], v[174:175], v[156:157], v[28:29]
	v_add_f64 v[174:175], v[178:179], -v[14:15]
	v_fma_f64 v[176:177], v[176:177], 2.0, -v[172:173]
	v_fma_f64 v[206:207], v[74:75], 2.0, -v[202:203]
	;; [unrolled: 1-line block ×3, first 2 shown]
	v_add_f64 v[210:211], v[214:215], -v[26:27]
	v_add_f64 v[218:219], v[222:223], -v[28:29]
	v_fma_f64 v[178:179], v[178:179], 2.0, -v[174:175]
	v_fma_f64 v[214:215], v[214:215], 2.0, -v[210:211]
	v_fma_f64 v[222:223], v[222:223], 2.0, -v[218:219]
	ds_write_b128 v253, v[160:163]
	ds_write_b128 v253, v[180:183] offset:6528
	ds_write_b128 v253, v[188:191] offset:816
	;; [unrolled: 1-line block ×15, first 2 shown]
	s_waitcnt lgkmcnt(0)
	; wave barrier
	s_waitcnt lgkmcnt(0)
	s_and_saveexec_b64 s[8:9], vcc
	s_cbranch_execz .LBB0_13
; %bb.12:
	s_add_u32 s10, s12, 0x3300
	s_addc_u32 s11, s13, 0
	global_load_dwordx4 v[6:9], v252, s[10:11]
	ds_read_b128 v[2:5], v253
	v_add_co_u32_e64 v1, s[2:3], s10, v252
	v_mov_b32_e32 v0, s11
	v_addc_co_u32_e64 v0, s[2:3], 0, v0, s[2:3]
	v_add_co_u32_e64 v14, s[2:3], s16, v1
	v_addc_co_u32_e64 v15, s[2:3], 0, v0, s[2:3]
	s_waitcnt vmcnt(0) lgkmcnt(0)
	v_mul_f64 v[10:11], v[4:5], v[8:9]
	v_fma_f64 v[10:11], v[2:3], v[6:7], -v[10:11]
	v_mul_f64 v[2:3], v[2:3], v[8:9]
	v_fma_f64 v[12:13], v[4:5], v[6:7], v[2:3]
	global_load_dwordx4 v[6:9], v252, s[10:11] offset:768
	ds_write_b128 v253, v[10:13]
	ds_read_b128 v[2:5], v252 offset:768
	s_waitcnt vmcnt(0) lgkmcnt(0)
	v_mul_f64 v[10:11], v[4:5], v[8:9]
	v_fma_f64 v[10:11], v[2:3], v[6:7], -v[10:11]
	v_mul_f64 v[2:3], v[2:3], v[8:9]
	v_fma_f64 v[12:13], v[4:5], v[6:7], v[2:3]
	ds_read_b128 v[2:5], v252 offset:1536
	global_load_dwordx4 v[6:9], v252, s[10:11] offset:1536
	ds_write_b128 v252, v[10:13] offset:768
	s_waitcnt vmcnt(0) lgkmcnt(1)
	v_mul_f64 v[10:11], v[4:5], v[8:9]
	v_fma_f64 v[10:11], v[2:3], v[6:7], -v[10:11]
	v_mul_f64 v[2:3], v[2:3], v[8:9]
	v_fma_f64 v[12:13], v[4:5], v[6:7], v[2:3]
	ds_read_b128 v[2:5], v252 offset:2304
	global_load_dwordx4 v[6:9], v252, s[10:11] offset:2304
	ds_write_b128 v252, v[10:13] offset:1536
	;; [unrolled: 8-line block ×4, first 2 shown]
	s_waitcnt vmcnt(0) lgkmcnt(1)
	v_mul_f64 v[10:11], v[4:5], v[8:9]
	v_fma_f64 v[10:11], v[2:3], v[6:7], -v[10:11]
	v_mul_f64 v[2:3], v[2:3], v[8:9]
	v_fma_f64 v[12:13], v[4:5], v[6:7], v[2:3]
	global_load_dwordx4 v[6:9], v[14:15], off offset:512
	ds_read_b128 v[2:5], v252 offset:4608
	ds_write_b128 v252, v[10:13] offset:3840
	s_waitcnt vmcnt(0) lgkmcnt(1)
	v_mul_f64 v[10:11], v[4:5], v[8:9]
	v_fma_f64 v[10:11], v[2:3], v[6:7], -v[10:11]
	v_mul_f64 v[2:3], v[2:3], v[8:9]
	v_fma_f64 v[12:13], v[4:5], v[6:7], v[2:3]
	global_load_dwordx4 v[6:9], v[14:15], off offset:1280
	ds_read_b128 v[2:5], v252 offset:5376
	ds_write_b128 v252, v[10:13] offset:4608
	s_waitcnt vmcnt(0) lgkmcnt(1)
	v_mul_f64 v[10:11], v[4:5], v[8:9]
	v_fma_f64 v[10:11], v[2:3], v[6:7], -v[10:11]
	v_mul_f64 v[2:3], v[2:3], v[8:9]
	v_fma_f64 v[12:13], v[4:5], v[6:7], v[2:3]
	v_or_b32_e32 v6, 0x1800, v252
	global_load_dwordx4 v[6:9], v6, s[10:11]
	ds_read_b128 v[2:5], v252 offset:6144
	ds_write_b128 v252, v[10:13] offset:5376
	s_waitcnt vmcnt(0) lgkmcnt(1)
	v_mul_f64 v[10:11], v[4:5], v[8:9]
	v_fma_f64 v[10:11], v[2:3], v[6:7], -v[10:11]
	v_mul_f64 v[2:3], v[2:3], v[8:9]
	v_fma_f64 v[12:13], v[4:5], v[6:7], v[2:3]
	global_load_dwordx4 v[6:9], v[14:15], off offset:2816
	ds_read_b128 v[2:5], v252 offset:6912
	ds_write_b128 v252, v[10:13] offset:6144
	s_waitcnt vmcnt(0) lgkmcnt(1)
	v_mul_f64 v[10:11], v[4:5], v[8:9]
	v_fma_f64 v[10:11], v[2:3], v[6:7], -v[10:11]
	v_mul_f64 v[2:3], v[2:3], v[8:9]
	v_fma_f64 v[12:13], v[4:5], v[6:7], v[2:3]
	global_load_dwordx4 v[6:9], v[14:15], off offset:3584
	ds_read_b128 v[2:5], v252 offset:7680
	ds_write_b128 v252, v[10:13] offset:6912
	s_waitcnt vmcnt(0) lgkmcnt(1)
	v_mul_f64 v[10:11], v[4:5], v[8:9]
	v_fma_f64 v[10:11], v[2:3], v[6:7], -v[10:11]
	v_mul_f64 v[2:3], v[2:3], v[8:9]
	v_fma_f64 v[12:13], v[4:5], v[6:7], v[2:3]
	ds_read_b128 v[2:5], v252 offset:8448
	ds_write_b128 v252, v[10:13] offset:7680
	v_add_co_u32_e64 v12, s[2:3], s17, v1
	v_addc_co_u32_e64 v13, s[2:3], 0, v0, s[2:3]
	global_load_dwordx4 v[6:9], v[12:13], off offset:256
	s_waitcnt vmcnt(0) lgkmcnt(1)
	v_mul_f64 v[0:1], v[4:5], v[8:9]
	v_fma_f64 v[0:1], v[2:3], v[6:7], -v[0:1]
	v_mul_f64 v[2:3], v[2:3], v[8:9]
	v_fma_f64 v[2:3], v[4:5], v[6:7], v[2:3]
	v_or_b32_e32 v4, 0x2400, v252
	global_load_dwordx4 v[4:7], v4, s[10:11]
	ds_write_b128 v252, v[0:3] offset:8448
	ds_read_b128 v[0:3], v252 offset:9216
	s_waitcnt vmcnt(0) lgkmcnt(0)
	v_mul_f64 v[8:9], v[2:3], v[6:7]
	v_fma_f64 v[8:9], v[0:1], v[4:5], -v[8:9]
	v_mul_f64 v[0:1], v[0:1], v[6:7]
	v_fma_f64 v[10:11], v[2:3], v[4:5], v[0:1]
	global_load_dwordx4 v[4:7], v[12:13], off offset:1792
	ds_read_b128 v[0:3], v252 offset:9984
	ds_write_b128 v252, v[8:11] offset:9216
	s_waitcnt vmcnt(0) lgkmcnt(1)
	v_mul_f64 v[8:9], v[2:3], v[6:7]
	v_fma_f64 v[8:9], v[0:1], v[4:5], -v[8:9]
	v_mul_f64 v[0:1], v[0:1], v[6:7]
	v_fma_f64 v[10:11], v[2:3], v[4:5], v[0:1]
	global_load_dwordx4 v[4:7], v[12:13], off offset:2560
	ds_read_b128 v[0:3], v252 offset:10752
	ds_write_b128 v252, v[8:11] offset:9984
	;; [unrolled: 8-line block ×3, first 2 shown]
	s_waitcnt vmcnt(0) lgkmcnt(1)
	v_mul_f64 v[8:9], v[2:3], v[6:7]
	v_fma_f64 v[8:9], v[0:1], v[4:5], -v[8:9]
	v_mul_f64 v[0:1], v[0:1], v[6:7]
	v_fma_f64 v[10:11], v[2:3], v[4:5], v[0:1]
	v_or_b32_e32 v4, 0x3000, v252
	global_load_dwordx4 v[4:7], v4, s[10:11]
	ds_read_b128 v[0:3], v252 offset:12288
	ds_write_b128 v252, v[8:11] offset:11520
	s_waitcnt vmcnt(0) lgkmcnt(1)
	v_mul_f64 v[8:9], v[2:3], v[6:7]
	v_fma_f64 v[8:9], v[0:1], v[4:5], -v[8:9]
	v_mul_f64 v[0:1], v[0:1], v[6:7]
	v_fma_f64 v[10:11], v[2:3], v[4:5], v[0:1]
	ds_write_b128 v252, v[8:11] offset:12288
.LBB0_13:
	s_or_b64 exec, exec, s[8:9]
	s_waitcnt lgkmcnt(0)
	; wave barrier
	s_waitcnt lgkmcnt(0)
	s_and_saveexec_b64 s[2:3], vcc
	s_cbranch_execz .LBB0_15
; %bb.14:
	ds_read_b128 v[160:163], v253
	ds_read_b128 v[180:183], v253 offset:768
	ds_read_b128 v[188:191], v253 offset:1536
	ds_read_b128 v[184:187], v253 offset:2304
	ds_read_b128 v[168:171], v253 offset:3072
	ds_read_b128 v[164:167], v253 offset:3840
	ds_read_b128 v[176:179], v253 offset:4608
	ds_read_b128 v[172:175], v253 offset:5376
	ds_read_b128 v[196:199], v253 offset:6144
	ds_read_b128 v[192:195], v253 offset:6912
	ds_read_b128 v[204:207], v253 offset:7680
	ds_read_b128 v[200:203], v253 offset:8448
	ds_read_b128 v[212:215], v253 offset:9216
	ds_read_b128 v[208:211], v253 offset:9984
	ds_read_b128 v[220:223], v253 offset:10752
	ds_read_b128 v[216:219], v253 offset:11520
	ds_read_b128 v[152:155], v253 offset:12288
.LBB0_15:
	s_or_b64 exec, exec, s[2:3]
	s_waitcnt lgkmcnt(0)
	v_add_f64 v[0:1], v[182:183], -v[154:155]
	s_mov_b32 s30, 0x5d8e7cdc
	s_mov_b32 s31, 0xbfd71e95
	v_add_f64 v[232:233], v[180:181], v[152:153]
	v_add_f64 v[236:237], v[182:183], v[154:155]
	v_add_f64 v[14:15], v[190:191], -v[218:219]
	s_mov_b32 s2, 0x370991
	s_mov_b32 s16, 0x2a9d6da3
	v_mul_f64 v[50:51], v[0:1], s[30:31]
	s_mov_b32 s3, 0x3fedd6d0
	s_mov_b32 s17, 0xbfe58eea
	v_add_f64 v[238:239], v[180:181], -v[152:153]
	v_mul_f64 v[52:53], v[236:237], s[2:3]
	v_add_f64 v[234:235], v[188:189], v[216:217]
	v_add_f64 v[12:13], v[190:191], v[218:219]
	v_mul_f64 v[54:55], v[14:15], s[16:17]
	v_fma_f64 v[2:3], v[232:233], s[2:3], -v[50:51]
	s_mov_b32 s8, 0x75d4884
	s_mov_b32 s9, 0x3fe7a5f6
	v_add_f64 v[242:243], v[188:189], -v[216:217]
	v_fma_f64 v[4:5], v[238:239], s[30:31], v[52:53]
	v_add_f64 v[246:247], v[186:187], -v[222:223]
	v_mul_f64 v[56:57], v[12:13], s[8:9]
	v_fma_f64 v[6:7], v[234:235], s[8:9], -v[54:55]
	v_add_f64 v[2:3], v[160:161], v[2:3]
	s_mov_b32 s40, 0x7c9e640b
	s_mov_b32 s41, 0xbfeca52d
	v_add_f64 v[244:245], v[186:187], v[222:223]
	v_add_f64 v[4:5], v[162:163], v[4:5]
	v_mul_f64 v[58:59], v[246:247], s[40:41]
	s_mov_b32 s10, 0x2b2883cd
	s_mov_b32 s11, 0x3fdc86fa
	v_add_f64 v[6:7], v[6:7], v[2:3]
	v_fma_f64 v[2:3], v[242:243], s[16:17], v[56:57]
	s_mov_b32 s24, 0xeb564b22
	v_mul_f64 v[60:61], v[244:245], s[10:11]
	s_mov_b32 s25, 0xbfefdd0d
	v_add_f64 v[240:241], v[168:169], v[208:209]
	v_add_f64 v[250:251], v[170:171], v[210:211]
	s_mov_b32 s18, 0x3259b75e
	s_mov_b32 s19, 0x3fb79ee6
	v_add_f64 v[8:9], v[2:3], v[4:5]
	v_add_f64 v[2:3], v[184:185], v[220:221]
	v_add_f64 v[4:5], v[184:185], -v[220:221]
	s_mov_b32 s36, 0x923c349f
	s_mov_b32 s37, 0xbfeec746
	v_mul_f64 v[64:65], v[250:251], s[18:19]
	v_add_f64 v[248:249], v[164:165], v[212:213]
	s_mov_b32 s20, 0xc61f0d01
	s_mov_b32 s21, 0xbfd183b1
	v_fma_f64 v[10:11], v[2:3], s[10:11], -v[58:59]
	v_add_f64 v[20:21], v[164:165], -v[212:213]
	v_add_f64 v[26:27], v[178:179], -v[202:203]
	s_mov_b32 s34, 0x6c9a05f6
	s_mov_b32 s35, 0xbfe9895b
	;; [unrolled: 1-line block ×4, first 2 shown]
	v_add_f64 v[30:31], v[176:177], -v[200:201]
	v_add_f64 v[16:17], v[10:11], v[6:7]
	v_fma_f64 v[6:7], v[4:5], s[40:41], v[60:61]
	v_add_f64 v[10:11], v[168:169], -v[208:209]
	v_mul_f64 v[70:71], v[26:27], s[34:35]
	v_add_f64 v[34:35], v[174:175], -v[206:207]
	s_mov_b32 s42, 0x4363dd80
	s_mov_b32 s43, 0xbfe0d888
	;; [unrolled: 1-line block ×4, first 2 shown]
	v_add_f64 v[8:9], v[6:7], v[8:9]
	v_add_f64 v[6:7], v[170:171], -v[210:211]
	v_add_f64 v[36:37], v[172:173], -v[204:205]
	v_mul_f64 v[74:75], v[34:35], s[42:43]
	s_mov_b32 s44, 0xacd6c6b4
	s_mov_b32 s45, 0xbfc7851a
	v_add_f64 v[42:43], v[196:197], -v[192:193]
	s_waitcnt lgkmcnt(0)
	; wave barrier
	v_mul_f64 v[62:63], v[6:7], s[24:25]
	v_fma_f64 v[18:19], v[240:241], s[18:19], -v[62:63]
	v_add_f64 v[22:23], v[18:19], v[16:17]
	v_fma_f64 v[16:17], v[10:11], s[24:25], v[64:65]
	v_add_f64 v[18:19], v[166:167], -v[214:215]
	v_add_f64 v[8:9], v[16:17], v[8:9]
	v_add_f64 v[16:17], v[166:167], v[214:215]
	v_mul_f64 v[66:67], v[18:19], s[36:37]
	v_mul_f64 v[68:69], v[16:17], s[20:21]
	v_fma_f64 v[24:25], v[248:249], s[20:21], -v[66:67]
	v_add_f64 v[22:23], v[24:25], v[22:23]
	v_fma_f64 v[24:25], v[20:21], s[36:37], v[68:69]
	v_add_f64 v[28:29], v[24:25], v[8:9]
	v_add_f64 v[8:9], v[176:177], v[200:201]
	;; [unrolled: 1-line block ×3, first 2 shown]
	v_fma_f64 v[32:33], v[8:9], s[26:27], -v[70:71]
	v_mul_f64 v[72:73], v[24:25], s[26:27]
	v_add_f64 v[38:39], v[32:33], v[22:23]
	v_fma_f64 v[22:23], v[30:31], s[34:35], v[72:73]
	v_add_f64 v[32:33], v[174:175], v[206:207]
	v_add_f64 v[28:29], v[22:23], v[28:29]
	v_add_f64 v[22:23], v[172:173], v[204:205]
	v_mul_f64 v[76:77], v[32:33], s[28:29]
	v_fma_f64 v[40:41], v[22:23], s[28:29], -v[74:75]
	v_add_f64 v[44:45], v[40:41], v[38:39]
	v_fma_f64 v[38:39], v[36:37], s[42:43], v[76:77]
	v_add_f64 v[40:41], v[198:199], -v[194:195]
	v_add_f64 v[46:47], v[38:39], v[28:29]
	v_add_f64 v[28:29], v[196:197], v[192:193]
	;; [unrolled: 1-line block ×3, first 2 shown]
	v_mul_f64 v[78:79], v[40:41], s[44:45]
	v_mul_f64 v[80:81], v[38:39], s[38:39]
	v_fma_f64 v[48:49], v[28:29], s[38:39], -v[78:79]
	v_add_f64 v[224:225], v[48:49], v[44:45]
	v_fma_f64 v[44:45], v[42:43], s[44:45], v[80:81]
	v_add_f64 v[226:227], v[44:45], v[46:47]
	s_and_saveexec_b64 s[22:23], vcc
	s_cbranch_execz .LBB0_17
; %bb.16:
	buffer_store_dword v50, off, s[60:63], 0 offset:460 ; 4-byte Folded Spill
	s_nop 0
	buffer_store_dword v51, off, s[60:63], 0 offset:464 ; 4-byte Folded Spill
	buffer_store_dword v72, off, s[60:63], 0 offset:452 ; 4-byte Folded Spill
	s_nop 0
	buffer_store_dword v73, off, s[60:63], 0 offset:456 ; 4-byte Folded Spill
	v_mul_f64 v[72:73], v[238:239], s[44:45]
	buffer_store_dword v74, off, s[60:63], 0 offset:444 ; 4-byte Folded Spill
	s_nop 0
	buffer_store_dword v75, off, s[60:63], 0 offset:448 ; 4-byte Folded Spill
	buffer_store_dword v228, off, s[60:63], 0 offset:408 ; 4-byte Folded Spill
	s_nop 0
	buffer_store_dword v229, off, s[60:63], 0 offset:412 ; 4-byte Folded Spill
	buffer_store_dword v229, off, s[60:63], 0 offset:416 ; 4-byte Folded Spill
	;; [unrolled: 1-line block ×4, first 2 shown]
	v_mul_f64 v[230:231], v[0:1], s[44:45]
	s_mov_b32 s49, 0x3fd71e95
	s_mov_b32 s48, s30
	buffer_store_dword v98, off, s[60:63], 0 offset:436 ; 4-byte Folded Spill
	buffer_store_dword v99, off, s[60:63], 0 offset:440 ; 4-byte Folded Spill
	;; [unrolled: 1-line block ×3, first 2 shown]
	s_nop 0
	buffer_store_dword v53, off, s[60:63], 0 offset:560 ; 4-byte Folded Spill
	buffer_store_dword v54, off, s[60:63], 0 offset:516 ; 4-byte Folded Spill
	s_nop 0
	buffer_store_dword v55, off, s[60:63], 0 offset:520 ; 4-byte Folded Spill
	buffer_store_dword v56, off, s[60:63], 0 offset:532 ; 4-byte Folded Spill
	;; [unrolled: 3-line block ×4, first 2 shown]
	s_nop 0
	buffer_store_dword v61, off, s[60:63], 0 offset:512 ; 4-byte Folded Spill
	v_mov_b32_e32 v98, v254
	v_mov_b32_e32 v99, v255
	v_mul_f64 v[254:255], v[242:243], s[48:49]
	v_fma_f64 v[54:55], v[236:237], s[38:39], v[72:73]
	v_mul_f64 v[58:59], v[14:15], s[48:49]
	v_fma_f64 v[60:61], v[232:233], s[38:39], -v[230:231]
	v_fma_f64 v[72:73], v[236:237], s[38:39], -v[72:73]
	buffer_store_dword v62, off, s[60:63], 0 offset:468 ; 4-byte Folded Spill
	s_nop 0
	buffer_store_dword v63, off, s[60:63], 0 offset:472 ; 4-byte Folded Spill
	buffer_store_dword v64, off, s[60:63], 0 offset:564 ; 4-byte Folded Spill
	s_nop 0
	buffer_store_dword v65, off, s[60:63], 0 offset:568 ; 4-byte Folded Spill
	;; [unrolled: 3-line block ×5, first 2 shown]
	v_mul_f64 v[56:57], v[4:5], s[42:43]
	v_fma_f64 v[62:63], v[12:13], s[2:3], v[254:255]
	v_fma_f64 v[70:71], v[234:235], s[2:3], -v[58:59]
	v_add_f64 v[60:61], v[160:161], v[60:61]
	v_fma_f64 v[254:255], v[12:13], s[2:3], -v[254:255]
	v_add_f64 v[72:73], v[162:163], v[72:73]
	s_mov_b32 s53, 0x3fe58eea
	s_mov_b32 s52, s16
	v_add_f64 v[54:55], v[162:163], v[54:55]
	v_mul_f64 v[64:65], v[10:11], s[52:53]
	v_fma_f64 v[66:67], v[244:245], s[28:29], v[56:57]
	v_mul_f64 v[68:69], v[246:247], s[42:43]
	v_add_f64 v[60:61], v[70:71], v[60:61]
	v_fma_f64 v[56:57], v[244:245], s[28:29], -v[56:57]
	v_add_f64 v[70:71], v[254:255], v[72:73]
	buffer_store_dword v76, off, s[60:63], 0 offset:572 ; 4-byte Folded Spill
	s_nop 0
	buffer_store_dword v77, off, s[60:63], 0 offset:576 ; 4-byte Folded Spill
	buffer_store_dword v78, off, s[60:63], 0 offset:540 ; 4-byte Folded Spill
	s_nop 0
	buffer_store_dword v79, off, s[60:63], 0 offset:544 ; 4-byte Folded Spill
	v_mul_f64 v[50:51], v[20:21], s[34:35]
	v_add_f64 v[54:55], v[62:63], v[54:55]
	v_fma_f64 v[62:63], v[250:251], s[8:9], v[64:65]
	v_fma_f64 v[230:231], v[232:233], s[38:39], v[230:231]
	v_mul_f64 v[76:77], v[6:7], s[52:53]
	v_fma_f64 v[78:79], v[2:3], s[28:29], -v[68:69]
	v_fma_f64 v[64:65], v[250:251], s[8:9], -v[64:65]
	v_add_f64 v[56:57], v[56:57], v[70:71]
	s_mov_b32 s47, 0x3feca52d
	s_mov_b32 s46, s40
	v_mul_f64 v[46:47], v[30:31], s[46:47]
	v_fma_f64 v[52:53], v[16:17], s[26:27], v[50:51]
	v_add_f64 v[54:55], v[66:67], v[54:55]
	v_fma_f64 v[58:59], v[234:235], s[2:3], v[58:59]
	v_add_f64 v[66:67], v[160:161], v[230:231]
	v_mul_f64 v[72:73], v[18:19], s[34:35]
	v_fma_f64 v[230:231], v[240:241], s[8:9], -v[76:77]
	v_add_f64 v[60:61], v[78:79], v[60:61]
	v_fma_f64 v[50:51], v[16:17], s[26:27], -v[50:51]
	v_add_f64 v[56:57], v[64:65], v[56:57]
	v_mul_f64 v[44:45], v[36:37], s[36:37]
	v_fma_f64 v[228:229], v[24:25], s[10:11], v[46:47]
	v_add_f64 v[54:55], v[62:63], v[54:55]
	v_fma_f64 v[62:63], v[2:3], s[28:29], v[68:69]
	v_add_f64 v[58:59], v[58:59], v[66:67]
	v_mul_f64 v[66:67], v[26:27], s[46:47]
	v_fma_f64 v[68:69], v[248:249], s[26:27], -v[72:73]
	v_add_f64 v[60:61], v[230:231], v[60:61]
	v_fma_f64 v[46:47], v[24:25], s[10:11], -v[46:47]
	v_add_f64 v[50:51], v[50:51], v[56:57]
	s_mov_b32 s57, 0x3fefdd0d
	s_mov_b32 s56, s24
	v_mul_f64 v[48:49], v[42:43], s[56:57]
	v_fma_f64 v[74:75], v[32:33], s[20:21], v[44:45]
	v_add_f64 v[52:53], v[52:53], v[54:55]
	v_fma_f64 v[54:55], v[240:241], s[8:9], v[76:77]
	v_add_f64 v[58:59], v[62:63], v[58:59]
	v_mul_f64 v[62:63], v[34:35], s[36:37]
	v_fma_f64 v[64:65], v[8:9], s[10:11], -v[66:67]
	v_add_f64 v[60:61], v[68:69], v[60:61]
	v_fma_f64 v[44:45], v[32:33], s[20:21], -v[44:45]
	v_add_f64 v[46:47], v[46:47], v[50:51]
	v_add_f64 v[52:53], v[228:229], v[52:53]
	v_fma_f64 v[56:57], v[248:249], s[26:27], v[72:73]
	v_add_f64 v[54:55], v[54:55], v[58:59]
	v_mul_f64 v[58:59], v[40:41], s[56:57]
	v_fma_f64 v[68:69], v[22:23], s[20:21], -v[62:63]
	v_add_f64 v[60:61], v[64:65], v[60:61]
	v_fma_f64 v[50:51], v[38:39], s[18:19], v[48:49]
	v_fma_f64 v[48:49], v[38:39], s[18:19], -v[48:49]
	v_add_f64 v[44:45], v[44:45], v[46:47]
	v_add_f64 v[52:53], v[74:75], v[52:53]
	;; [unrolled: 1-line block ×3, first 2 shown]
	v_fma_f64 v[56:57], v[28:29], s[18:19], -v[58:59]
	v_fma_f64 v[64:65], v[8:9], s[10:11], v[66:67]
	v_add_f64 v[60:61], v[68:69], v[60:61]
	v_mul_f64 v[66:67], v[0:1], s[42:43]
	v_mul_f64 v[72:73], v[4:5], s[24:25]
	v_add_f64 v[94:95], v[48:49], v[44:45]
	v_mul_f64 v[44:45], v[238:239], s[42:43]
	v_add_f64 v[52:53], v[50:51], v[52:53]
	v_fma_f64 v[48:49], v[28:29], s[18:19], v[58:59]
	v_mul_f64 v[58:59], v[242:243], s[46:47]
	v_add_f64 v[50:51], v[56:57], v[60:61]
	v_mul_f64 v[78:79], v[14:15], s[46:47]
	v_fma_f64 v[228:229], v[232:233], s[28:29], -v[66:67]
	v_fma_f64 v[66:67], v[232:233], s[28:29], v[66:67]
	v_fma_f64 v[60:61], v[236:237], s[28:29], v[44:45]
	v_fma_f64 v[44:45], v[236:237], s[28:29], -v[44:45]
	buffer_store_dword v50, off, s[60:63], 0 offset:476 ; 4-byte Folded Spill
	s_nop 0
	buffer_store_dword v51, off, s[60:63], 0 offset:480 ; 4-byte Folded Spill
	buffer_store_dword v52, off, s[60:63], 0 offset:484 ; 4-byte Folded Spill
	;; [unrolled: 1-line block ×3, first 2 shown]
	v_fma_f64 v[74:75], v[12:13], s[10:11], v[58:59]
	s_mov_b32 s59, 0x3fe9895b
	s_mov_b32 s58, s34
	v_add_f64 v[60:61], v[162:163], v[60:61]
	buffer_store_dword v80, off, s[60:63], 0 offset:596 ; 4-byte Folded Spill
	s_nop 0
	buffer_store_dword v81, off, s[60:63], 0 offset:600 ; 4-byte Folded Spill
	v_mul_f64 v[68:69], v[10:11], s[58:59]
	v_fma_f64 v[254:255], v[244:245], s[18:19], v[72:73]
	v_fma_f64 v[80:81], v[234:235], s[10:11], -v[78:79]
	v_fma_f64 v[58:59], v[12:13], s[10:11], -v[58:59]
	v_add_f64 v[44:45], v[162:163], v[44:45]
	v_fma_f64 v[78:79], v[234:235], s[10:11], v[78:79]
	v_add_f64 v[60:61], v[74:75], v[60:61]
	v_mul_f64 v[74:75], v[246:247], s[24:25]
	v_add_f64 v[66:67], v[160:161], v[66:67]
	v_fma_f64 v[46:47], v[22:23], s[20:21], v[62:63]
	v_add_f64 v[54:55], v[64:65], v[54:55]
	v_mul_f64 v[56:57], v[20:21], s[30:31]
	v_fma_f64 v[230:231], v[250:251], s[26:27], v[68:69]
	v_add_f64 v[82:83], v[160:161], v[228:229]
	v_add_f64 v[60:61], v[254:255], v[60:61]
	v_mul_f64 v[228:229], v[6:7], s[58:59]
	v_fma_f64 v[72:73], v[244:245], s[18:19], -v[72:73]
	v_add_f64 v[44:45], v[58:59], v[44:45]
	v_fma_f64 v[58:59], v[2:3], s[18:19], v[74:75]
	v_add_f64 v[66:67], v[78:79], v[66:67]
	v_add_f64 v[46:47], v[46:47], v[54:55]
	v_mul_f64 v[54:55], v[30:31], s[44:45]
	v_fma_f64 v[76:77], v[16:17], s[2:3], v[56:57]
	v_fma_f64 v[254:255], v[2:3], s[18:19], -v[74:75]
	v_add_f64 v[80:81], v[80:81], v[82:83]
	v_add_f64 v[60:61], v[230:231], v[60:61]
	v_mul_f64 v[74:75], v[18:19], s[30:31]
	v_fma_f64 v[68:69], v[250:251], s[26:27], -v[68:69]
	v_add_f64 v[44:45], v[72:73], v[44:45]
	v_fma_f64 v[72:73], v[240:241], s[26:27], v[228:229]
	v_add_f64 v[58:59], v[58:59], v[66:67]
	v_fma_f64 v[70:71], v[24:25], s[38:39], v[54:55]
	v_fma_f64 v[78:79], v[240:241], s[26:27], -v[228:229]
	v_add_f64 v[80:81], v[254:255], v[80:81]
	v_add_f64 v[60:61], v[76:77], v[60:61]
	v_mul_f64 v[66:67], v[26:27], s[44:45]
	v_fma_f64 v[56:57], v[16:17], s[2:3], -v[56:57]
	v_add_f64 v[44:45], v[68:69], v[44:45]
	v_fma_f64 v[68:69], v[248:249], s[2:3], v[74:75]
	v_add_f64 v[58:59], v[72:73], v[58:59]
	v_mul_f64 v[64:65], v[36:37], s[52:53]
	v_fma_f64 v[76:77], v[248:249], s[2:3], -v[74:75]
	v_add_f64 v[78:79], v[78:79], v[80:81]
	v_add_f64 v[60:61], v[70:71], v[60:61]
	v_mul_f64 v[70:71], v[34:35], s[52:53]
	v_fma_f64 v[54:55], v[24:25], s[38:39], -v[54:55]
	v_add_f64 v[44:45], v[56:57], v[44:45]
	v_fma_f64 v[56:57], v[8:9], s[38:39], v[66:67]
	v_add_f64 v[58:59], v[68:69], v[58:59]
	v_add_f64 v[92:93], v[48:49], v[46:47]
	v_mul_f64 v[62:63], v[42:43], s[36:37]
	v_fma_f64 v[52:53], v[32:33], s[8:9], v[64:65]
	v_fma_f64 v[72:73], v[8:9], s[38:39], -v[66:67]
	v_add_f64 v[74:75], v[76:77], v[78:79]
	v_add_f64 v[44:45], v[54:55], v[44:45]
	v_fma_f64 v[54:55], v[22:23], s[8:9], v[70:71]
	v_add_f64 v[56:57], v[56:57], v[58:59]
	buffer_store_dword v92, off, s[60:63], 0 offset:580 ; 4-byte Folded Spill
	s_nop 0
	buffer_store_dword v93, off, s[60:63], 0 offset:584 ; 4-byte Folded Spill
	buffer_store_dword v94, off, s[60:63], 0 offset:588 ; 4-byte Folded Spill
	;; [unrolled: 1-line block ×4, first 2 shown]
	s_nop 0
	buffer_store_dword v153, off, s[60:63], 0 offset:608 ; 4-byte Folded Spill
	buffer_store_dword v154, off, s[60:63], 0 offset:612 ; 4-byte Folded Spill
	buffer_store_dword v155, off, s[60:63], 0 offset:616 ; 4-byte Folded Spill
	v_mov_b32_e32 v155, v151
	v_fma_f64 v[50:51], v[38:39], s[20:21], v[62:63]
	v_add_f64 v[52:53], v[52:53], v[60:61]
	v_mov_b32_e32 v154, v150
	v_mov_b32_e32 v153, v149
	;; [unrolled: 1-line block ×8, first 2 shown]
	v_fma_f64 v[66:67], v[22:23], s[8:9], -v[70:71]
	v_add_f64 v[68:69], v[72:73], v[74:75]
	v_fma_f64 v[64:65], v[32:33], s[8:9], -v[64:65]
	v_mov_b32_e32 v146, v142
	v_mov_b32_e32 v145, v141
	;; [unrolled: 1-line block ×4, first 2 shown]
	v_add_f64 v[54:55], v[54:55], v[56:57]
	v_mul_f64 v[56:57], v[238:239], s[34:35]
	v_mov_b32_e32 v142, v138
	v_mov_b32_e32 v141, v137
	;; [unrolled: 1-line block ×23, first 2 shown]
	v_add_f64 v[100:101], v[50:51], v[52:53]
	v_fma_f64 v[50:51], v[38:39], s[20:21], -v[62:63]
	v_mul_f64 v[62:63], v[0:1], s[34:35]
	s_mov_b32 s51, 0x3feec746
	s_mov_b32 s50, s36
	v_add_f64 v[48:49], v[66:67], v[68:69]
	v_add_f64 v[44:45], v[64:65], v[44:45]
	v_mul_f64 v[64:65], v[242:243], s[50:51]
	v_fma_f64 v[68:69], v[236:237], s[26:27], v[56:57]
	v_mul_f64 v[76:77], v[14:15], s[50:51]
	v_fma_f64 v[78:79], v[232:233], s[26:27], -v[62:63]
	v_mul_f64 v[72:73], v[4:5], s[30:31]
	v_fma_f64 v[56:57], v[236:237], s[26:27], -v[56:57]
	v_mul_f64 v[230:231], v[246:247], s[30:31]
	v_mul_f64 v[82:83], v[10:11], s[42:43]
	v_fma_f64 v[80:81], v[12:13], s[20:21], v[64:65]
	v_add_f64 v[68:69], v[162:163], v[68:69]
	v_fma_f64 v[254:255], v[234:235], s[20:21], -v[76:77]
	v_add_f64 v[78:79], v[160:161], v[78:79]
	v_fma_f64 v[228:229], v[244:245], s[2:3], v[72:73]
	v_fma_f64 v[64:65], v[12:13], s[20:21], -v[64:65]
	v_add_f64 v[56:57], v[162:163], v[56:57]
	v_mul_f64 v[94:95], v[6:7], s[42:43]
	buffer_store_dword v96, off, s[60:63], 0 offset:428 ; 4-byte Folded Spill
	buffer_store_dword v97, off, s[60:63], 0 offset:432 ; 4-byte Folded Spill
	v_add_f64 v[68:69], v[80:81], v[68:69]
	v_fma_f64 v[96:97], v[2:3], s[2:3], -v[230:231]
	v_add_f64 v[78:79], v[254:255], v[78:79]
	v_mul_f64 v[60:61], v[40:41], s[36:37]
	v_mul_f64 v[80:81], v[20:21], s[56:57]
	v_fma_f64 v[92:93], v[250:251], s[28:29], v[82:83]
	v_fma_f64 v[72:73], v[244:245], s[2:3], -v[72:73]
	v_add_f64 v[56:57], v[64:65], v[56:57]
	v_add_f64 v[64:65], v[228:229], v[68:69]
	v_fma_f64 v[62:63], v[232:233], s[26:27], v[62:63]
	v_mov_b32_e32 v255, v99
	v_mov_b32_e32 v254, v98
	v_mul_f64 v[98:99], v[18:19], s[56:57]
	v_fma_f64 v[228:229], v[240:241], s[28:29], -v[94:95]
	v_add_f64 v[78:79], v[96:97], v[78:79]
	v_fma_f64 v[46:47], v[28:29], s[20:21], -v[60:61]
	v_fma_f64 v[52:53], v[28:29], s[20:21], v[60:61]
	v_mul_f64 v[60:61], v[30:31], s[16:17]
	v_fma_f64 v[68:69], v[16:17], s[18:19], v[80:81]
	v_fma_f64 v[82:83], v[250:251], s[28:29], -v[82:83]
	v_add_f64 v[56:57], v[72:73], v[56:57]
	v_add_f64 v[64:65], v[92:93], v[64:65]
	v_fma_f64 v[72:73], v[234:235], s[20:21], v[76:77]
	v_add_f64 v[62:63], v[160:161], v[62:63]
	v_mul_f64 v[76:77], v[26:27], s[16:17]
	v_fma_f64 v[92:93], v[248:249], s[18:19], -v[98:99]
	v_add_f64 v[78:79], v[228:229], v[78:79]
	v_fma_f64 v[74:75], v[24:25], s[8:9], v[60:61]
	v_fma_f64 v[80:81], v[16:17], s[18:19], -v[80:81]
	v_add_f64 v[56:57], v[82:83], v[56:57]
	v_add_f64 v[64:65], v[68:69], v[64:65]
	v_fma_f64 v[68:69], v[2:3], s[2:3], v[230:231]
	v_add_f64 v[62:63], v[72:73], v[62:63]
	v_fma_f64 v[82:83], v[8:9], s[8:9], -v[76:77]
	v_add_f64 v[78:79], v[92:93], v[78:79]
	v_mul_f64 v[58:59], v[36:37], s[44:45]
	v_mul_f64 v[72:73], v[34:35], s[44:45]
	v_fma_f64 v[60:61], v[24:25], s[8:9], -v[60:61]
	v_add_f64 v[56:57], v[80:81], v[56:57]
	v_add_f64 v[64:65], v[74:75], v[64:65]
	v_fma_f64 v[74:75], v[240:241], s[28:29], v[94:95]
	v_add_f64 v[62:63], v[68:69], v[62:63]
	v_add_f64 v[78:79], v[82:83], v[78:79]
	v_fma_f64 v[82:83], v[248:249], s[18:19], v[98:99]
	v_add_f64 v[98:99], v[46:47], v[48:49]
	v_mul_f64 v[66:67], v[42:43], s[46:47]
	v_fma_f64 v[70:71], v[32:33], s[38:39], v[58:59]
	v_fma_f64 v[80:81], v[22:23], s[38:39], -v[72:73]
	v_fma_f64 v[58:59], v[32:33], s[38:39], -v[58:59]
	v_add_f64 v[56:57], v[60:61], v[56:57]
	v_add_f64 v[62:63], v[74:75], v[62:63]
	buffer_store_dword v98, off, s[60:63], 0 offset:620 ; 4-byte Folded Spill
	s_nop 0
	buffer_store_dword v99, off, s[60:63], 0 offset:624 ; 4-byte Folded Spill
	buffer_store_dword v100, off, s[60:63], 0 offset:628 ; 4-byte Folded Spill
	;; [unrolled: 1-line block ×3, first 2 shown]
	v_mov_b32_e32 v100, v104
	v_fma_f64 v[60:61], v[38:39], s[10:11], v[66:67]
	v_add_f64 v[64:65], v[70:71], v[64:65]
	v_add_f64 v[74:75], v[80:81], v[78:79]
	v_fma_f64 v[66:67], v[38:39], s[10:11], -v[66:67]
	v_add_f64 v[56:57], v[58:59], v[56:57]
	v_mov_b32_e32 v101, v105
	v_mov_b32_e32 v102, v106
	;; [unrolled: 1-line block ×4, first 2 shown]
	v_fma_f64 v[46:47], v[8:9], s[8:9], v[76:77]
	v_add_f64 v[48:49], v[82:83], v[62:63]
	v_add_f64 v[78:79], v[50:51], v[44:45]
	v_add_f64 v[76:77], v[52:53], v[54:55]
	v_mul_f64 v[44:45], v[238:239], s[36:37]
	v_mul_f64 v[54:55], v[0:1], s[36:37]
	v_mov_b32_e32 v105, v125
	v_mov_b32_e32 v106, v126
	;; [unrolled: 1-line block ×28, first 2 shown]
	s_mov_b32 s55, 0x3fe0d888
	s_mov_b32 s54, s42
	v_mul_f64 v[68:69], v[40:41], s[46:47]
	v_mov_b32_e32 v149, v153
	v_mov_b32_e32 v150, v154
	;; [unrolled: 1-line block ×3, first 2 shown]
	v_add_f64 v[154:155], v[60:61], v[64:65]
	v_add_f64 v[98:99], v[66:67], v[56:57]
	;; [unrolled: 1-line block ×3, first 2 shown]
	v_mul_f64 v[48:49], v[242:243], s[54:55]
	v_fma_f64 v[56:57], v[236:237], s[20:21], v[44:45]
	v_mul_f64 v[64:65], v[14:15], s[54:55]
	v_fma_f64 v[66:67], v[232:233], s[20:21], -v[54:55]
	buffer_store_dword v76, off, s[60:63], 0 offset:636 ; 4-byte Folded Spill
	s_nop 0
	buffer_store_dword v77, off, s[60:63], 0 offset:640 ; 4-byte Folded Spill
	buffer_store_dword v78, off, s[60:63], 0 offset:644 ; 4-byte Folded Spill
	;; [unrolled: 1-line block ×3, first 2 shown]
	v_fma_f64 v[70:71], v[28:29], s[10:11], -v[68:69]
	v_mul_f64 v[60:61], v[4:5], s[52:53]
	v_mul_f64 v[76:77], v[246:247], s[52:53]
	v_fma_f64 v[62:63], v[12:13], s[28:29], v[48:49]
	v_add_f64 v[56:57], v[162:163], v[56:57]
	v_fma_f64 v[78:79], v[234:235], s[28:29], -v[64:65]
	v_add_f64 v[66:67], v[160:161], v[66:67]
	v_fma_f64 v[50:51], v[22:23], s[38:39], v[72:73]
	v_add_f64 v[152:153], v[70:71], v[74:75]
	v_mul_f64 v[72:73], v[10:11], s[40:41]
	v_fma_f64 v[74:75], v[244:245], s[8:9], v[60:61]
	v_mul_f64 v[82:83], v[6:7], s[40:41]
	v_add_f64 v[56:57], v[62:63], v[56:57]
	v_fma_f64 v[94:95], v[2:3], s[8:9], -v[76:77]
	v_fma_f64 v[44:45], v[236:237], s[20:21], -v[44:45]
	v_add_f64 v[66:67], v[78:79], v[66:67]
	v_mul_f64 v[62:63], v[20:21], s[44:45]
	v_fma_f64 v[92:93], v[250:251], s[10:11], v[72:73]
	v_mul_f64 v[78:79], v[18:19], s[44:45]
	v_fma_f64 v[96:97], v[240:241], s[10:11], -v[82:83]
	v_add_f64 v[56:57], v[74:75], v[56:57]
	v_fma_f64 v[48:49], v[12:13], s[28:29], -v[48:49]
	v_add_f64 v[44:45], v[162:163], v[44:45]
	v_add_f64 v[66:67], v[94:95], v[66:67]
	v_mul_f64 v[70:71], v[30:31], s[56:57]
	v_fma_f64 v[74:75], v[16:17], s[38:39], v[62:63]
	v_fma_f64 v[54:55], v[232:233], s[20:21], v[54:55]
	v_fma_f64 v[94:95], v[248:249], s[38:39], -v[78:79]
	v_add_f64 v[56:57], v[92:93], v[56:57]
	v_mul_f64 v[92:93], v[26:27], s[56:57]
	v_add_f64 v[44:45], v[48:49], v[44:45]
	v_add_f64 v[48:49], v[96:97], v[66:67]
	v_mul_f64 v[58:59], v[36:37], s[30:31]
	v_fma_f64 v[80:81], v[24:25], s[18:19], v[70:71]
	v_fma_f64 v[60:61], v[244:245], s[8:9], -v[60:61]
	v_fma_f64 v[64:65], v[234:235], s[28:29], v[64:65]
	v_add_f64 v[54:55], v[160:161], v[54:55]
	v_add_f64 v[56:57], v[74:75], v[56:57]
	v_mul_f64 v[66:67], v[34:35], s[30:31]
	v_fma_f64 v[74:75], v[8:9], s[18:19], -v[92:93]
	v_add_f64 v[48:49], v[94:95], v[48:49]
	v_fma_f64 v[52:53], v[28:29], s[10:11], v[68:69]
	v_add_f64 v[46:47], v[50:51], v[46:47]
	v_mul_f64 v[50:51], v[42:43], s[34:35]
	v_fma_f64 v[68:69], v[32:33], s[2:3], v[58:59]
	v_fma_f64 v[72:73], v[250:251], s[10:11], -v[72:73]
	v_add_f64 v[54:55], v[64:65], v[54:55]
	v_add_f64 v[44:45], v[60:61], v[44:45]
	v_add_f64 v[56:57], v[80:81], v[56:57]
	v_mul_f64 v[60:61], v[40:41], s[34:35]
	v_fma_f64 v[64:65], v[22:23], s[2:3], -v[66:67]
	v_add_f64 v[48:49], v[74:75], v[48:49]
	v_fma_f64 v[76:77], v[2:3], s[8:9], v[76:77]
	v_fma_f64 v[62:63], v[16:17], s[38:39], -v[62:63]
	v_fma_f64 v[80:81], v[240:241], s[10:11], v[82:83]
	v_add_f64 v[44:45], v[72:73], v[44:45]
	v_fma_f64 v[72:73], v[38:39], s[26:27], v[50:51]
	v_add_f64 v[56:57], v[68:69], v[56:57]
	v_fma_f64 v[68:69], v[28:29], s[26:27], -v[60:61]
	v_add_f64 v[48:49], v[64:65], v[48:49]
	v_add_f64 v[54:55], v[76:77], v[54:55]
	;; [unrolled: 1-line block ×3, first 2 shown]
	v_fma_f64 v[70:71], v[24:25], s[18:19], -v[70:71]
	v_add_f64 v[44:45], v[62:63], v[44:45]
	v_fma_f64 v[74:75], v[248:249], s[38:39], v[78:79]
	v_add_f64 v[64:65], v[72:73], v[56:57]
	v_fma_f64 v[46:47], v[32:33], s[2:3], -v[58:59]
	v_add_f64 v[62:63], v[68:69], v[48:49]
	v_add_f64 v[54:55], v[80:81], v[54:55]
	v_mul_f64 v[52:53], v[238:239], s[24:25]
	v_mul_f64 v[58:59], v[0:1], s[24:25]
	buffer_store_dword v96, off, s[60:63], 0 offset:668 ; 4-byte Folded Spill
	s_nop 0
	buffer_store_dword v97, off, s[60:63], 0 offset:672 ; 4-byte Folded Spill
	buffer_store_dword v98, off, s[60:63], 0 offset:676 ; 4-byte Folded Spill
	;; [unrolled: 1-line block ×4, first 2 shown]
	s_nop 0
	buffer_store_dword v63, off, s[60:63], 0 offset:656 ; 4-byte Folded Spill
	buffer_store_dword v64, off, s[60:63], 0 offset:660 ; 4-byte Folded Spill
	;; [unrolled: 1-line block ×3, first 2 shown]
	v_fma_f64 v[56:57], v[8:9], s[18:19], v[92:93]
	v_add_f64 v[54:55], v[74:75], v[54:55]
	v_add_f64 v[44:45], v[70:71], v[44:45]
	v_mul_f64 v[48:49], v[242:243], s[44:45]
	v_fma_f64 v[62:63], v[236:237], s[18:19], v[52:53]
	v_fma_f64 v[64:65], v[22:23], s[2:3], v[66:67]
	v_mul_f64 v[66:67], v[14:15], s[44:45]
	v_fma_f64 v[68:69], v[232:233], s[18:19], -v[58:59]
	v_mul_f64 v[72:73], v[246:247], s[50:51]
	v_add_f64 v[54:55], v[56:57], v[54:55]
	v_add_f64 v[44:45], v[46:47], v[44:45]
	v_mul_f64 v[46:47], v[4:5], s[50:51]
	v_fma_f64 v[56:57], v[12:13], s[38:39], v[48:49]
	v_add_f64 v[62:63], v[162:163], v[62:63]
	v_fma_f64 v[74:75], v[234:235], s[38:39], -v[66:67]
	v_add_f64 v[68:69], v[160:161], v[68:69]
	v_mul_f64 v[80:81], v[6:7], s[48:49]
	v_add_f64 v[54:55], v[64:65], v[54:55]
	v_mul_f64 v[64:65], v[10:11], s[48:49]
	v_fma_f64 v[70:71], v[244:245], s[20:21], v[46:47]
	v_fma_f64 v[52:53], v[236:237], s[18:19], -v[52:53]
	v_add_f64 v[56:57], v[56:57], v[62:63]
	v_fma_f64 v[82:83], v[2:3], s[20:21], -v[72:73]
	v_add_f64 v[68:69], v[74:75], v[68:69]
	v_mul_f64 v[76:77], v[20:21], s[40:41]
	v_mul_f64 v[92:93], v[18:19], s[40:41]
	v_fma_f64 v[78:79], v[250:251], s[2:3], v[64:65]
	v_fma_f64 v[48:49], v[12:13], s[38:39], -v[48:49]
	v_add_f64 v[52:53], v[162:163], v[52:53]
	v_add_f64 v[56:57], v[70:71], v[56:57]
	v_fma_f64 v[94:95], v[240:241], s[2:3], -v[80:81]
	v_add_f64 v[68:69], v[82:83], v[68:69]
	v_mul_f64 v[70:71], v[30:31], s[42:43]
	v_fma_f64 v[74:75], v[16:17], s[10:11], v[76:77]
	v_mul_f64 v[96:97], v[26:27], s[42:43]
	v_fma_f64 v[46:47], v[244:245], s[20:21], -v[46:47]
	v_add_f64 v[48:49], v[48:49], v[52:53]
	v_add_f64 v[56:57], v[78:79], v[56:57]
	v_fma_f64 v[52:53], v[248:249], s[10:11], -v[92:93]
	v_add_f64 v[68:69], v[94:95], v[68:69]
	v_fma_f64 v[58:59], v[232:233], s[18:19], v[58:59]
	v_mul_f64 v[78:79], v[36:37], s[58:59]
	v_fma_f64 v[82:83], v[24:25], s[28:29], v[70:71]
	v_mul_f64 v[94:95], v[34:35], s[58:59]
	v_fma_f64 v[64:65], v[250:251], s[2:3], -v[64:65]
	v_add_f64 v[56:57], v[74:75], v[56:57]
	v_add_f64 v[46:47], v[46:47], v[48:49]
	v_fma_f64 v[48:49], v[8:9], s[28:29], -v[96:97]
	v_add_f64 v[52:53], v[52:53], v[68:69]
	v_fma_f64 v[66:67], v[234:235], s[38:39], v[66:67]
	v_add_f64 v[58:59], v[160:161], v[58:59]
	v_fma_f64 v[50:51], v[38:39], s[26:27], -v[50:51]
	v_mul_f64 v[62:63], v[42:43], s[52:53]
	v_fma_f64 v[74:75], v[32:33], s[26:27], v[78:79]
	v_add_f64 v[56:57], v[82:83], v[56:57]
	v_mul_f64 v[68:69], v[40:41], s[52:53]
	v_add_f64 v[46:47], v[64:65], v[46:47]
	v_fma_f64 v[64:65], v[22:23], s[26:27], -v[94:95]
	v_add_f64 v[48:49], v[48:49], v[52:53]
	v_fma_f64 v[72:73], v[2:3], s[20:21], v[72:73]
	v_add_f64 v[58:59], v[66:67], v[58:59]
	v_fma_f64 v[52:53], v[38:39], s[8:9], v[62:63]
	v_add_f64 v[56:57], v[74:75], v[56:57]
	v_fma_f64 v[66:67], v[24:25], s[28:29], -v[70:71]
	v_fma_f64 v[70:71], v[28:29], s[8:9], -v[68:69]
	v_add_f64 v[230:231], v[50:51], v[44:45]
	v_add_f64 v[48:49], v[64:65], v[48:49]
	v_fma_f64 v[44:45], v[240:241], s[2:3], v[80:81]
	v_add_f64 v[50:51], v[72:73], v[58:59]
	v_fma_f64 v[60:61], v[28:29], s[26:27], v[60:61]
	v_fma_f64 v[76:77], v[16:17], s[10:11], -v[76:77]
	v_add_f64 v[74:75], v[52:53], v[56:57]
	v_mul_f64 v[52:53], v[238:239], s[40:41]
	v_mul_f64 v[56:57], v[0:1], s[40:41]
	v_add_f64 v[72:73], v[70:71], v[48:49]
	v_fma_f64 v[48:49], v[248:249], s[10:11], v[92:93]
	v_add_f64 v[44:45], v[44:45], v[50:51]
	v_add_f64 v[228:229], v[60:61], v[54:55]
	;; [unrolled: 1-line block ×3, first 2 shown]
	v_fma_f64 v[50:51], v[38:39], s[8:9], -v[62:63]
	v_mul_f64 v[60:61], v[242:243], s[34:35]
	v_fma_f64 v[62:63], v[236:237], s[10:11], v[52:53]
	v_fma_f64 v[64:65], v[232:233], s[10:11], -v[56:57]
	s_mov_b32 s57, 0x3fc7851a
	v_add_f64 v[44:45], v[48:49], v[44:45]
	v_mul_f64 v[48:49], v[14:15], s[34:35]
	s_mov_b32 s56, s44
	v_fma_f64 v[54:55], v[32:33], s[26:27], -v[78:79]
	v_add_f64 v[46:47], v[66:67], v[46:47]
	v_fma_f64 v[58:59], v[8:9], s[28:29], v[96:97]
	v_mul_f64 v[66:67], v[4:5], s[56:57]
	v_fma_f64 v[70:71], v[12:13], s[26:27], v[60:61]
	v_add_f64 v[62:63], v[162:163], v[62:63]
	v_mul_f64 v[76:77], v[246:247], s[56:57]
	v_fma_f64 v[78:79], v[234:235], s[26:27], -v[48:49]
	v_add_f64 v[64:65], v[160:161], v[64:65]
	v_add_f64 v[46:47], v[54:55], v[46:47]
	v_fma_f64 v[54:55], v[22:23], s[26:27], v[94:95]
	v_add_f64 v[44:45], v[58:59], v[44:45]
	v_fma_f64 v[58:59], v[28:29], s[8:9], v[68:69]
	v_mul_f64 v[68:69], v[10:11], s[50:51]
	v_fma_f64 v[80:81], v[244:245], s[38:39], v[66:67]
	v_add_f64 v[62:63], v[70:71], v[62:63]
	v_mul_f64 v[70:71], v[6:7], s[50:51]
	v_fma_f64 v[82:83], v[2:3], s[38:39], -v[76:77]
	v_add_f64 v[64:65], v[78:79], v[64:65]
	v_add_f64 v[44:45], v[54:55], v[44:45]
	;; [unrolled: 1-line block ×3, first 2 shown]
	v_mul_f64 v[50:51], v[20:21], s[52:53]
	v_fma_f64 v[54:55], v[250:251], s[20:21], v[68:69]
	v_add_f64 v[62:63], v[80:81], v[62:63]
	v_mul_f64 v[78:79], v[18:19], s[52:53]
	v_fma_f64 v[80:81], v[240:241], s[20:21], -v[70:71]
	v_add_f64 v[64:65], v[82:83], v[64:65]
	v_fma_f64 v[52:53], v[236:237], s[10:11], -v[52:53]
	v_fma_f64 v[56:57], v[232:233], s[10:11], v[56:57]
	v_fma_f64 v[82:83], v[16:17], s[8:9], v[50:51]
	v_add_f64 v[44:45], v[58:59], v[44:45]
	v_add_f64 v[54:55], v[54:55], v[62:63]
	v_fma_f64 v[92:93], v[248:249], s[8:9], -v[78:79]
	v_mul_f64 v[58:59], v[30:31], s[30:31]
	v_add_f64 v[64:65], v[80:81], v[64:65]
	v_mul_f64 v[80:81], v[26:27], s[30:31]
	v_fma_f64 v[60:61], v[12:13], s[26:27], -v[60:61]
	v_add_f64 v[52:53], v[162:163], v[52:53]
	v_fma_f64 v[48:49], v[234:235], s[26:27], v[48:49]
	v_add_f64 v[54:55], v[82:83], v[54:55]
	v_mul_f64 v[82:83], v[34:35], s[24:25]
	v_add_f64 v[56:57], v[160:161], v[56:57]
	v_add_f64 v[64:65], v[92:93], v[64:65]
	v_fma_f64 v[92:93], v[8:9], s[2:3], -v[80:81]
	v_mul_f64 v[62:63], v[36:37], s[24:25]
	v_fma_f64 v[94:95], v[24:25], s[2:3], v[58:59]
	v_fma_f64 v[66:67], v[244:245], s[38:39], -v[66:67]
	v_add_f64 v[52:53], v[60:61], v[52:53]
	v_fma_f64 v[76:77], v[2:3], s[38:39], v[76:77]
	v_add_f64 v[48:49], v[48:49], v[56:57]
	v_mul_f64 v[56:57], v[40:41], s[42:43]
	v_add_f64 v[64:65], v[92:93], v[64:65]
	v_fma_f64 v[92:93], v[22:23], s[18:19], -v[82:83]
	v_mul_f64 v[60:61], v[42:43], s[42:43]
	v_add_f64 v[54:55], v[94:95], v[54:55]
	v_fma_f64 v[94:95], v[32:33], s[18:19], v[62:63]
	v_add_f64 v[52:53], v[66:67], v[52:53]
	v_fma_f64 v[68:69], v[250:251], s[20:21], -v[68:69]
	v_add_f64 v[76:77], v[76:77], v[48:49]
	v_fma_f64 v[70:71], v[240:241], s[20:21], v[70:71]
	v_add_f64 v[64:65], v[92:93], v[64:65]
	v_fma_f64 v[92:93], v[28:29], s[28:29], -v[56:57]
	v_fma_f64 v[98:99], v[16:17], s[8:9], -v[50:51]
	v_add_f64 v[54:55], v[94:95], v[54:55]
	v_fma_f64 v[94:95], v[38:39], s[28:29], v[60:61]
	v_add_f64 v[52:53], v[68:69], v[52:53]
	v_fma_f64 v[58:59], v[24:25], s[2:3], -v[58:59]
	v_add_f64 v[70:71], v[70:71], v[76:77]
	v_fma_f64 v[62:63], v[32:33], s[18:19], -v[62:63]
	v_add_f64 v[48:49], v[92:93], v[64:65]
	v_fma_f64 v[64:65], v[248:249], s[8:9], v[78:79]
	v_add_f64 v[92:93], v[162:163], v[182:183]
	v_add_f64 v[50:51], v[94:95], v[54:55]
	;; [unrolled: 1-line block ×4, first 2 shown]
	v_mul_f64 v[180:181], v[238:239], s[16:17]
	v_mul_f64 v[78:79], v[4:5], s[40:41]
	;; [unrolled: 1-line block ×3, first 2 shown]
	v_add_f64 v[64:65], v[64:65], v[70:71]
	v_fma_f64 v[70:71], v[8:9], s[2:3], v[80:81]
	v_add_f64 v[92:93], v[92:93], v[190:191]
	v_add_f64 v[52:53], v[58:59], v[52:53]
	v_mul_f64 v[0:1], v[0:1], s[16:17]
	v_fma_f64 v[60:61], v[38:39], s[28:29], -v[60:61]
	v_mul_f64 v[14:15], v[14:15], s[24:25]
	v_mul_f64 v[96:97], v[238:239], s[30:31]
	v_mul_f64 v[80:81], v[10:11], s[24:25]
	v_add_f64 v[58:59], v[70:71], v[64:65]
	v_mul_f64 v[64:65], v[242:243], s[24:25]
	v_fma_f64 v[70:71], v[236:237], s[8:9], v[180:181]
	v_add_f64 v[92:93], v[92:93], v[186:187]
	v_fma_f64 v[180:181], v[236:237], s[8:9], -v[180:181]
	v_add_f64 v[52:53], v[62:63], v[52:53]
	v_add_f64 v[94:95], v[94:95], v[188:189]
	v_mul_f64 v[10:11], v[10:11], s[44:45]
	v_fma_f64 v[238:239], v[244:245], s[26:27], -v[4:5]
	v_fma_f64 v[186:187], v[12:13], s[18:19], v[64:65]
	v_add_f64 v[70:71], v[162:163], v[70:71]
	v_fma_f64 v[12:13], v[12:13], s[18:19], -v[64:65]
	v_add_f64 v[180:181], v[162:163], v[180:181]
	v_mul_f64 v[54:55], v[242:243], s[16:17]
	v_mul_f64 v[188:189], v[20:21], s[36:37]
	v_add_f64 v[94:95], v[94:95], v[184:185]
	v_fma_f64 v[242:243], v[250:251], s[38:39], v[10:11]
	v_mul_f64 v[20:21], v[20:21], s[54:55]
	v_add_f64 v[70:71], v[186:187], v[70:71]
	v_fma_f64 v[186:187], v[244:245], s[26:27], v[4:5]
	v_add_f64 v[4:5], v[60:61], v[52:53]
	v_fma_f64 v[52:53], v[28:29], s[28:29], v[56:57]
	v_add_f64 v[12:13], v[12:13], v[180:181]
	v_fma_f64 v[56:57], v[234:235], s[18:19], -v[14:15]
	v_mul_f64 v[180:181], v[246:247], s[34:35]
	v_mul_f64 v[6:7], v[6:7], s[44:45]
	v_fma_f64 v[10:11], v[250:251], s[38:39], -v[10:11]
	v_add_f64 v[70:71], v[186:187], v[70:71]
	v_fma_f64 v[186:187], v[232:233], s[8:9], -v[0:1]
	v_add_f64 v[92:93], v[92:93], v[170:171]
	v_add_f64 v[12:13], v[238:239], v[12:13]
	;; [unrolled: 1-line block ×3, first 2 shown]
	v_mul_f64 v[18:19], v[18:19], s[54:55]
	v_fma_f64 v[170:171], v[240:241], s[38:39], -v[6:7]
	v_mul_f64 v[184:185], v[30:31], s[34:35]
	v_add_f64 v[70:71], v[242:243], v[70:71]
	v_add_f64 v[60:61], v[160:161], v[186:187]
	v_fma_f64 v[242:243], v[16:17], s[28:29], v[20:21]
	v_mul_f64 v[30:31], v[30:31], s[50:51]
	v_fma_f64 v[16:17], v[16:17], s[28:29], -v[20:21]
	v_add_f64 v[10:11], v[10:11], v[12:13]
	v_add_f64 v[20:21], v[94:95], v[164:165]
	v_mul_f64 v[26:27], v[26:27], s[50:51]
	v_mul_f64 v[64:65], v[42:43], s[48:49]
	v_add_f64 v[56:57], v[56:57], v[60:61]
	v_fma_f64 v[60:61], v[2:3], s[26:27], -v[180:181]
	v_fma_f64 v[168:169], v[24:25], s[20:21], v[30:31]
	v_fma_f64 v[24:25], v[24:25], s[20:21], -v[30:31]
	v_add_f64 v[10:11], v[16:17], v[10:11]
	v_add_f64 v[16:17], v[20:21], v[176:177]
	v_mul_f64 v[20:21], v[34:35], s[46:47]
	v_fma_f64 v[30:31], v[8:9], s[20:21], -v[26:27]
	v_fma_f64 v[186:187], v[38:39], s[2:3], v[64:65]
	v_add_f64 v[56:57], v[60:61], v[56:57]
	v_add_f64 v[60:61], v[242:243], v[70:71]
	v_fma_f64 v[70:71], v[248:249], s[28:29], -v[18:19]
	v_fma_f64 v[82:83], v[22:23], s[18:19], v[82:83]
	v_add_f64 v[10:11], v[24:25], v[10:11]
	v_mul_f64 v[24:25], v[40:41], s[48:49]
	v_mul_f64 v[66:67], v[232:233], s[2:3]
	;; [unrolled: 1-line block ×3, first 2 shown]
	v_add_f64 v[56:57], v[170:171], v[56:57]
	v_add_f64 v[60:61], v[168:169], v[60:61]
	v_fma_f64 v[0:1], v[232:233], s[8:9], v[0:1]
	v_add_f64 v[58:59], v[82:83], v[58:59]
	v_mul_f64 v[82:83], v[36:37], s[42:43]
	v_mul_f64 v[36:37], v[36:37], s[46:47]
	v_fma_f64 v[14:15], v[234:235], s[18:19], v[14:15]
	v_mul_f64 v[76:77], v[2:3], s[10:11]
	v_add_f64 v[34:35], v[70:71], v[56:57]
	v_mul_f64 v[98:99], v[240:241], s[18:19]
	v_add_f64 v[0:1], v[160:161], v[0:1]
	v_fma_f64 v[2:3], v[2:3], s[26:27], v[180:181]
	v_fma_f64 v[6:7], v[240:241], s[38:39], v[6:7]
	;; [unrolled: 1-line block ×3, first 2 shown]
	v_fma_f64 v[32:33], v[32:33], s[10:11], -v[36:37]
	v_mul_f64 v[190:191], v[8:9], s[26:27]
	v_add_f64 v[30:31], v[30:31], v[34:35]
	v_fma_f64 v[34:35], v[38:39], s[2:3], -v[64:65]
	buffer_load_dword v38, off, s[60:63], 0 offset:556 ; 4-byte Folded Reload
	buffer_load_dword v39, off, s[60:63], 0 offset:560 ; 4-byte Folded Reload
	v_add_f64 v[0:1], v[14:15], v[0:1]
	v_fma_f64 v[36:37], v[22:23], s[10:11], -v[20:21]
	v_add_f64 v[56:57], v[238:239], v[60:61]
	v_add_f64 v[10:11], v[32:33], v[10:11]
	;; [unrolled: 1-line block ×3, first 2 shown]
	v_mul_f64 v[182:183], v[248:249], s[20:21]
	v_mul_f64 v[62:63], v[22:23], s[28:29]
	v_add_f64 v[12:13], v[92:93], v[166:167]
	v_add_f64 v[0:1], v[2:3], v[0:1]
	v_fma_f64 v[2:3], v[248:249], s[28:29], v[18:19]
	v_mul_f64 v[236:237], v[28:29], s[38:39]
	v_mul_f64 v[42:43], v[42:43], s[44:45]
	v_add_f64 v[16:17], v[16:17], v[196:197]
	v_add_f64 v[12:13], v[12:13], v[178:179]
	v_add_f64 v[0:1], v[6:7], v[0:1]
	v_fma_f64 v[6:7], v[8:9], s[20:21], v[26:27]
	v_add_f64 v[16:17], v[16:17], v[192:193]
	v_add_f64 v[12:13], v[12:13], v[174:175]
	v_add_f64 v[0:1], v[2:3], v[0:1]
	v_fma_f64 v[2:3], v[22:23], s[10:11], v[20:21]
	v_add_f64 v[16:17], v[16:17], v[204:205]
	v_add_f64 v[12:13], v[12:13], v[198:199]
	v_add_f64 v[0:1], v[6:7], v[0:1]
	v_fma_f64 v[6:7], v[28:29], s[2:3], v[24:25]
	v_fma_f64 v[24:25], v[28:29], s[2:3], -v[24:25]
	v_add_f64 v[28:29], v[36:37], v[30:31]
	v_add_f64 v[16:17], v[16:17], v[200:201]
	v_add_f64 v[12:13], v[12:13], v[194:195]
	v_add_f64 v[0:1], v[2:3], v[0:1]
	v_add_f64 v[2:3], v[52:53], v[58:59]
	v_add_f64 v[16:17], v[16:17], v[212:213]
	v_add_f64 v[12:13], v[12:13], v[206:207]
	v_add_f64 v[6:7], v[6:7], v[0:1]
	v_mul_lo_u16_e32 v0, 17, v254
	v_lshlrev_b32_e32 v0, 4, v0
	v_add_f64 v[16:17], v[16:17], v[208:209]
	v_add_f64 v[12:13], v[12:13], v[202:203]
	v_add_f64 v[16:17], v[16:17], v[220:221]
	v_add_f64 v[12:13], v[12:13], v[214:215]
	v_add_f64 v[12:13], v[12:13], v[210:211]
	s_waitcnt vmcnt(0)
	v_add_f64 v[38:39], v[38:39], -v[96:97]
	buffer_load_dword v97, off, s[60:63], 0 offset:432 ; 4-byte Folded Reload
	buffer_load_dword v96, off, s[60:63], 0 offset:428 ; 4-byte Folded Reload
	buffer_load_dword v32, off, s[60:63], 0 offset:460 ; 4-byte Folded Reload
	buffer_load_dword v33, off, s[60:63], 0 offset:464 ; 4-byte Folded Reload
	buffer_load_dword v40, off, s[60:63], 0 offset:532 ; 4-byte Folded Reload
	buffer_load_dword v41, off, s[60:63], 0 offset:536 ; 4-byte Folded Reload
	v_add_f64 v[12:13], v[12:13], v[222:223]
	v_add_f64 v[38:39], v[162:163], v[38:39]
	s_waitcnt vmcnt(2)
	v_add_f64 v[32:33], v[66:67], v[32:33]
	s_waitcnt vmcnt(0)
	v_add_f64 v[40:41], v[40:41], -v[54:55]
	buffer_load_dword v54, off, s[60:63], 0 offset:516 ; 4-byte Folded Reload
	buffer_load_dword v55, off, s[60:63], 0 offset:520 ; 4-byte Folded Reload
	;; [unrolled: 1-line block ×4, first 2 shown]
	v_add_f64 v[32:33], v[160:161], v[32:33]
	v_add_f64 v[38:39], v[40:41], v[38:39]
	buffer_load_dword v40, off, s[60:63], 0 offset:492 ; 4-byte Folded Reload
	buffer_load_dword v41, off, s[60:63], 0 offset:496 ; 4-byte Folded Reload
	;; [unrolled: 1-line block ×4, first 2 shown]
	s_waitcnt vmcnt(6)
	v_add_f64 v[54:55], v[68:69], v[54:55]
	s_waitcnt vmcnt(4)
	v_add_f64 v[60:61], v[60:61], -v[78:79]
	v_add_f64 v[32:33], v[54:55], v[32:33]
	buffer_load_dword v54, off, s[60:63], 0 offset:468 ; 4-byte Folded Reload
	buffer_load_dword v55, off, s[60:63], 0 offset:472 ; 4-byte Folded Reload
	s_waitcnt vmcnt(2)
	v_add_f64 v[14:15], v[14:15], -v[80:81]
	v_add_f64 v[38:39], v[60:61], v[38:39]
	v_add_f64 v[40:41], v[76:77], v[40:41]
	;; [unrolled: 1-line block ×4, first 2 shown]
	s_waitcnt vmcnt(0)
	v_add_f64 v[54:55], v[98:99], v[54:55]
	buffer_load_dword v99, off, s[60:63], 0 offset:440 ; 4-byte Folded Reload
	buffer_load_dword v98, off, s[60:63], 0 offset:436 ; 4-byte Folded Reload
	buffer_load_dword v18, off, s[60:63], 0 offset:548 ; 4-byte Folded Reload
	buffer_load_dword v19, off, s[60:63], 0 offset:552 ; 4-byte Folded Reload
	buffer_load_dword v38, off, s[60:63], 0 offset:524 ; 4-byte Folded Reload
	buffer_load_dword v39, off, s[60:63], 0 offset:528 ; 4-byte Folded Reload
	buffer_load_dword v8, off, s[60:63], 0 offset:452 ; 4-byte Folded Reload
	buffer_load_dword v9, off, s[60:63], 0 offset:456 ; 4-byte Folded Reload
	v_add_f64 v[32:33], v[54:55], v[32:33]
	s_waitcnt vmcnt(4)
	v_add_f64 v[18:19], v[18:19], -v[188:189]
	s_waitcnt vmcnt(2)
	v_add_f64 v[38:39], v[182:183], v[38:39]
	s_waitcnt vmcnt(0)
	v_add_f64 v[8:9], v[8:9], -v[184:185]
	v_add_f64 v[14:15], v[18:19], v[14:15]
	buffer_load_dword v18, off, s[60:63], 0 offset:500 ; 4-byte Folded Reload
	buffer_load_dword v19, off, s[60:63], 0 offset:504 ; 4-byte Folded Reload
	;; [unrolled: 1-line block ×4, first 2 shown]
	v_add_f64 v[26:27], v[38:39], v[32:33]
	v_add_f64 v[38:39], v[16:17], v[216:217]
	;; [unrolled: 1-line block ×4, first 2 shown]
	buffer_load_dword v14, off, s[60:63], 0 offset:444 ; 4-byte Folded Reload
	buffer_load_dword v15, off, s[60:63], 0 offset:448 ; 4-byte Folded Reload
	buffer_load_dword v22, off, s[60:63], 0 offset:596 ; 4-byte Folded Reload
	buffer_load_dword v23, off, s[60:63], 0 offset:600 ; 4-byte Folded Reload
	s_waitcnt vmcnt(6)
	v_add_f64 v[18:19], v[190:191], v[18:19]
	s_waitcnt vmcnt(4)
	v_add_f64 v[20:21], v[20:21], -v[82:83]
	s_waitcnt vmcnt(2)
	v_add_f64 v[14:15], v[62:63], v[14:15]
	v_add_f64 v[18:19], v[18:19], v[26:27]
	;; [unrolled: 1-line block ×3, first 2 shown]
	buffer_load_dword v8, off, s[60:63], 0 offset:540 ; 4-byte Folded Reload
	buffer_load_dword v9, off, s[60:63], 0 offset:544 ; 4-byte Folded Reload
	s_waitcnt vmcnt(2)
	v_add_f64 v[22:23], v[22:23], -v[42:43]
	v_add_f64 v[18:19], v[14:15], v[18:19]
	buffer_load_dword v14, off, s[60:63], 0 offset:604 ; 4-byte Folded Reload
	buffer_load_dword v15, off, s[60:63], 0 offset:608 ; 4-byte Folded Reload
	;; [unrolled: 1-line block ×4, first 2 shown]
	v_add_f64 v[12:13], v[22:23], v[20:21]
	v_add_f64 v[20:21], v[186:187], v[56:57]
	s_waitcnt vmcnt(4)
	v_add_f64 v[26:27], v[236:237], v[8:9]
	v_add_f64 v[8:9], v[34:35], v[10:11]
	s_waitcnt vmcnt(0)
	v_add_f64 v[16:17], v[32:33], v[16:17]
	v_add_f64 v[14:15], v[38:39], v[14:15]
	;; [unrolled: 1-line block ×3, first 2 shown]
	ds_write_b128 v0, v[14:17]
	ds_write_b128 v0, v[10:13] offset:16
	ds_write_b128 v0, v[6:9] offset:32
	;; [unrolled: 1-line block ×5, first 2 shown]
	buffer_load_dword v231, off, s[60:63], 0 offset:424 ; 4-byte Folded Reload
	buffer_load_dword v230, off, s[60:63], 0 offset:420 ; 4-byte Folded Reload
	;; [unrolled: 1-line block ×9, first 2 shown]
	v_add_f64 v[18:19], v[24:25], v[28:29]
	s_waitcnt vmcnt(0)
	ds_write_b128 v0, v[1:4] offset:96
	buffer_load_dword v1, off, s[60:63], 0 offset:636 ; 4-byte Folded Reload
	buffer_load_dword v2, off, s[60:63], 0 offset:640 ; 4-byte Folded Reload
	buffer_load_dword v3, off, s[60:63], 0 offset:644 ; 4-byte Folded Reload
	buffer_load_dword v4, off, s[60:63], 0 offset:648 ; 4-byte Folded Reload
	s_waitcnt vmcnt(0)
	ds_write_b128 v0, v[1:4] offset:112
	buffer_load_dword v1, off, s[60:63], 0 offset:580 ; 4-byte Folded Reload
	buffer_load_dword v2, off, s[60:63], 0 offset:584 ; 4-byte Folded Reload
	buffer_load_dword v3, off, s[60:63], 0 offset:588 ; 4-byte Folded Reload
	buffer_load_dword v4, off, s[60:63], 0 offset:592 ; 4-byte Folded Reload
	;; [unrolled: 6-line block ×4, first 2 shown]
	s_waitcnt vmcnt(0)
	ds_write_b128 v0, v[1:4] offset:160
	ds_write_b128 v0, v[152:155] offset:176
	buffer_load_dword v1, off, s[60:63], 0 offset:652 ; 4-byte Folded Reload
	buffer_load_dword v2, off, s[60:63], 0 offset:656 ; 4-byte Folded Reload
	;; [unrolled: 1-line block ×4, first 2 shown]
	s_waitcnt vmcnt(0)
	ds_write_b128 v0, v[1:4] offset:192
	ds_write_b128 v0, v[72:75] offset:208
	;; [unrolled: 1-line block ×5, first 2 shown]
.LBB0_17:
	s_or_b64 exec, exec, s[22:23]
	s_waitcnt lgkmcnt(0)
	; wave barrier
	s_waitcnt lgkmcnt(0)
	ds_read_b128 v[0:3], v253
	ds_read_b128 v[4:7], v253 offset:816
	ds_read_b128 v[8:11], v253 offset:6528
	;; [unrolled: 1-line block ×15, first 2 shown]
	buffer_load_dword v76, off, s[60:63], 0 offset:32 ; 4-byte Folded Reload
	buffer_load_dword v77, off, s[60:63], 0 offset:36 ; 4-byte Folded Reload
	;; [unrolled: 1-line block ×12, first 2 shown]
	s_waitcnt vmcnt(8) lgkmcnt(13)
	v_mul_f64 v[52:53], v[78:79], v[10:11]
	v_mul_f64 v[54:55], v[78:79], v[8:9]
	buffer_load_dword v78, off, s[60:63], 0 offset:48 ; 4-byte Folded Reload
	buffer_load_dword v79, off, s[60:63], 0 offset:52 ; 4-byte Folded Reload
	;; [unrolled: 1-line block ×4, first 2 shown]
	s_waitcnt vmcnt(8) lgkmcnt(12)
	v_mul_f64 v[56:57], v[70:71], v[14:15]
	v_mul_f64 v[58:59], v[70:71], v[12:13]
	s_waitcnt vmcnt(4) lgkmcnt(9)
	v_mul_f64 v[60:61], v[94:95], v[26:27]
	v_mul_f64 v[62:63], v[94:95], v[24:25]
	v_fma_f64 v[8:9], v[76:77], v[8:9], v[52:53]
	v_fma_f64 v[10:11], v[76:77], v[10:11], -v[54:55]
	v_fma_f64 v[12:13], v[68:69], v[12:13], v[56:57]
	v_fma_f64 v[14:15], v[68:69], v[14:15], -v[58:59]
	v_fma_f64 v[24:25], v[92:93], v[24:25], v[60:61]
	v_fma_f64 v[26:27], v[92:93], v[26:27], -v[62:63]
	v_add_f64 v[8:9], v[0:1], -v[8:9]
	v_add_f64 v[10:11], v[2:3], -v[10:11]
	;; [unrolled: 1-line block ×6, first 2 shown]
	v_fma_f64 v[0:1], v[0:1], 2.0, -v[8:9]
	v_fma_f64 v[2:3], v[2:3], 2.0, -v[10:11]
	;; [unrolled: 1-line block ×4, first 2 shown]
	s_waitcnt vmcnt(0) lgkmcnt(8)
	v_mul_f64 v[64:65], v[80:81], v[30:31]
	v_mul_f64 v[66:67], v[80:81], v[28:29]
	v_fma_f64 v[28:29], v[78:79], v[28:29], v[64:65]
	v_fma_f64 v[30:31], v[78:79], v[30:31], -v[66:67]
	buffer_load_dword v76, off, s[60:63], 0 offset:96 ; 4-byte Folded Reload
	buffer_load_dword v77, off, s[60:63], 0 offset:100 ; 4-byte Folded Reload
	;; [unrolled: 1-line block ×8, first 2 shown]
	v_add_f64 v[28:29], v[20:21], -v[28:29]
	v_add_f64 v[30:31], v[22:23], -v[30:31]
	v_fma_f64 v[20:21], v[20:21], 2.0, -v[28:29]
	v_fma_f64 v[22:23], v[22:23], 2.0, -v[30:31]
	s_waitcnt vmcnt(4) lgkmcnt(5)
	v_mul_f64 v[52:53], v[78:79], v[42:43]
	v_mul_f64 v[54:55], v[78:79], v[40:41]
	buffer_load_dword v78, off, s[60:63], 0 offset:112 ; 4-byte Folded Reload
	buffer_load_dword v79, off, s[60:63], 0 offset:116 ; 4-byte Folded Reload
	;; [unrolled: 1-line block ×4, first 2 shown]
	s_waitcnt vmcnt(4) lgkmcnt(4)
	v_mul_f64 v[56:57], v[70:71], v[46:47]
	v_mul_f64 v[58:59], v[70:71], v[44:45]
	v_fma_f64 v[52:53], v[76:77], v[40:41], v[52:53]
	v_fma_f64 v[54:55], v[76:77], v[42:43], -v[54:55]
	v_fma_f64 v[40:41], v[4:5], 2.0, -v[12:13]
	v_fma_f64 v[42:43], v[6:7], 2.0, -v[14:15]
	v_fma_f64 v[56:57], v[68:69], v[44:45], v[56:57]
	v_fma_f64 v[58:59], v[68:69], v[46:47], -v[58:59]
	v_add_f64 v[44:45], v[32:33], -v[52:53]
	v_add_f64 v[46:47], v[34:35], -v[54:55]
	v_fma_f64 v[32:33], v[32:33], 2.0, -v[44:45]
	v_fma_f64 v[34:35], v[34:35], 2.0, -v[46:47]
	s_waitcnt vmcnt(0) lgkmcnt(1)
	v_mul_f64 v[60:61], v[80:81], v[154:155]
	v_mul_f64 v[62:63], v[80:81], v[152:153]
	buffer_load_dword v80, off, s[60:63], 0 offset:128 ; 4-byte Folded Reload
	buffer_load_dword v81, off, s[60:63], 0 offset:132 ; 4-byte Folded Reload
	;; [unrolled: 1-line block ×4, first 2 shown]
	s_waitcnt lgkmcnt(0)
	; wave barrier
	s_waitcnt lgkmcnt(0)
	ds_write_b128 v229, v[0:3]
	ds_write_b128 v229, v[8:11] offset:272
	ds_write_b128 v230, v[40:43]
	ds_write_b128 v230, v[12:15] offset:272
	;; [unrolled: 2-line block ×4, first 2 shown]
	buffer_load_dword v0, off, s[60:63], 0 offset:144 ; 4-byte Folded Reload
	s_waitcnt vmcnt(0)
	ds_write_b128 v0, v[32:35]
	ds_write_b128 v0, v[44:47] offset:272
	buffer_load_dword v0, off, s[60:63], 0 offset:148 ; 4-byte Folded Reload
	v_fma_f64 v[60:61], v[78:79], v[152:153], v[60:61]
	v_fma_f64 v[62:63], v[78:79], v[154:155], -v[62:63]
	v_add_f64 v[152:153], v[36:37], -v[56:57]
	v_add_f64 v[154:155], v[38:39], -v[58:59]
	v_mul_f64 v[64:65], v[82:83], v[162:163]
	v_mul_f64 v[66:67], v[82:83], v[160:161]
	v_fma_f64 v[36:37], v[36:37], 2.0, -v[152:153]
	v_fma_f64 v[38:39], v[38:39], 2.0, -v[154:155]
	v_fma_f64 v[64:65], v[80:81], v[160:161], v[64:65]
	v_fma_f64 v[66:67], v[80:81], v[162:163], -v[66:67]
	v_add_f64 v[160:161], v[48:49], -v[60:61]
	v_add_f64 v[162:163], v[50:51], -v[62:63]
	s_waitcnt vmcnt(0)
	ds_write_b128 v0, v[36:39]
	ds_write_b128 v0, v[152:155] offset:272
	buffer_load_dword v0, off, s[60:63], 0 offset:152 ; 4-byte Folded Reload
	v_fma_f64 v[48:49], v[48:49], 2.0, -v[160:161]
	v_fma_f64 v[50:51], v[50:51], 2.0, -v[162:163]
	v_add_f64 v[4:5], v[72:73], -v[64:65]
	v_add_f64 v[6:7], v[74:75], -v[66:67]
	s_waitcnt vmcnt(0)
	ds_write_b128 v0, v[48:51]
	ds_write_b128 v0, v[160:163] offset:272
	buffer_load_dword v0, off, s[60:63], 0 offset:156 ; 4-byte Folded Reload
	v_fma_f64 v[72:73], v[72:73], 2.0, -v[4:5]
	v_fma_f64 v[74:75], v[74:75], 2.0, -v[6:7]
	s_waitcnt vmcnt(0)
	ds_write_b128 v0, v[72:75]
	ds_write_b128 v0, v[4:7] offset:272
	s_waitcnt lgkmcnt(0)
	; wave barrier
	s_waitcnt lgkmcnt(0)
	ds_read_b128 v[28:31], v253
	ds_read_b128 v[24:27], v253 offset:816
	ds_read_b128 v[176:179], v253 offset:8704
	;; [unrolled: 1-line block ×14, first 2 shown]
	s_and_saveexec_b64 s[2:3], s[0:1]
	s_cbranch_execz .LBB0_19
; %bb.18:
	ds_read_b128 v[4:7], v253 offset:4080
	ds_read_b128 v[224:227], v253 offset:8432
	;; [unrolled: 1-line block ×3, first 2 shown]
	s_waitcnt lgkmcnt(0)
	buffer_store_dword v0, off, s[60:63], 0 ; 4-byte Folded Spill
	s_nop 0
	buffer_store_dword v1, off, s[60:63], 0 offset:4 ; 4-byte Folded Spill
	buffer_store_dword v2, off, s[60:63], 0 offset:8 ; 4-byte Folded Spill
	;; [unrolled: 1-line block ×3, first 2 shown]
.LBB0_19:
	s_or_b64 exec, exec, s[2:3]
	buffer_load_dword v48, off, s[60:63], 0 offset:304 ; 4-byte Folded Reload
	buffer_load_dword v49, off, s[60:63], 0 offset:308 ; 4-byte Folded Reload
	;; [unrolled: 1-line block ×8, first 2 shown]
	s_mov_b32 s2, 0xe8584caa
	s_mov_b32 s3, 0xbfebb67a
	;; [unrolled: 1-line block ×4, first 2 shown]
	s_waitcnt vmcnt(4) lgkmcnt(4)
	v_mul_f64 v[0:1], v[50:51], v[182:183]
	v_mul_f64 v[2:3], v[50:51], v[180:181]
	buffer_load_dword v50, off, s[60:63], 0 offset:176 ; 4-byte Folded Reload
	buffer_load_dword v51, off, s[60:63], 0 offset:180 ; 4-byte Folded Reload
	;; [unrolled: 1-line block ×12, first 2 shown]
	s_waitcnt vmcnt(12)
	v_mul_f64 v[12:13], v[56:57], v[178:179]
	buffer_load_dword v62, off, s[60:63], 0 offset:192 ; 4-byte Folded Reload
	buffer_load_dword v63, off, s[60:63], 0 offset:196 ; 4-byte Folded Reload
	;; [unrolled: 1-line block ×4, first 2 shown]
	v_mul_f64 v[14:15], v[56:57], v[176:177]
	v_fma_f64 v[46:47], v[48:49], v[180:181], v[0:1]
	v_fma_f64 v[2:3], v[48:49], v[182:183], -v[2:3]
	v_fma_f64 v[48:49], v[54:55], v[176:177], v[12:13]
	v_fma_f64 v[14:15], v[54:55], v[178:179], -v[14:15]
	s_waitcnt vmcnt(12)
	v_mul_f64 v[40:41], v[52:53], v[174:175]
	v_mul_f64 v[42:43], v[52:53], v[172:173]
	s_waitcnt vmcnt(4)
	v_mul_f64 v[12:13], v[68:69], v[154:155]
	v_mul_f64 v[44:45], v[60:61], v[166:167]
	;; [unrolled: 3-line block ×3, first 2 shown]
	v_mul_f64 v[0:1], v[60:61], v[164:165]
	v_fma_f64 v[40:41], v[50:51], v[172:173], v[40:41]
	v_fma_f64 v[42:43], v[50:51], v[174:175], -v[42:43]
	v_mul_f64 v[50:51], v[68:69], v[152:153]
	buffer_load_dword v68, off, s[60:63], 0 offset:240 ; 4-byte Folded Reload
	buffer_load_dword v69, off, s[60:63], 0 offset:244 ; 4-byte Folded Reload
	;; [unrolled: 1-line block ×8, first 2 shown]
	v_fma_f64 v[60:61], v[66:67], v[152:153], v[12:13]
	v_fma_f64 v[52:53], v[62:63], v[160:161], v[52:53]
	v_fma_f64 v[54:55], v[62:63], v[162:163], -v[54:55]
	buffer_load_dword v92, off, s[60:63], 0 offset:272 ; 4-byte Folded Reload
	buffer_load_dword v93, off, s[60:63], 0 offset:276 ; 4-byte Folded Reload
	;; [unrolled: 1-line block ×4, first 2 shown]
	v_fma_f64 v[44:45], v[58:59], v[164:165], v[44:45]
	v_fma_f64 v[58:59], v[58:59], v[166:167], -v[0:1]
	v_fma_f64 v[50:51], v[66:67], v[154:155], -v[50:51]
	v_add_f64 v[66:67], v[46:47], v[48:49]
	s_waitcnt vmcnt(8) lgkmcnt(2)
	v_mul_f64 v[56:57], v[70:71], v[170:171]
	s_waitcnt vmcnt(4)
	v_mul_f64 v[12:13], v[78:79], v[74:75]
	v_mul_f64 v[62:63], v[78:79], v[72:73]
	buffer_load_dword v78, off, s[60:63], 0 offset:256 ; 4-byte Folded Reload
	buffer_load_dword v79, off, s[60:63], 0 offset:260 ; 4-byte Folded Reload
	;; [unrolled: 1-line block ×4, first 2 shown]
	v_mul_f64 v[0:1], v[70:71], v[168:169]
	s_waitcnt lgkmcnt(0)
	; wave barrier
	s_waitcnt lgkmcnt(0)
	v_fma_f64 v[56:57], v[68:69], v[168:169], v[56:57]
	v_fma_f64 v[62:63], v[76:77], v[74:75], -v[62:63]
	v_add_f64 v[74:75], v[28:29], v[46:47]
	v_fma_f64 v[64:65], v[68:69], v[170:171], -v[0:1]
	s_waitcnt vmcnt(4)
	v_mul_f64 v[0:1], v[94:95], v[38:39]
	v_fma_f64 v[68:69], v[76:77], v[72:73], v[12:13]
	v_mul_f64 v[12:13], v[94:95], v[36:37]
	v_fma_f64 v[28:29], v[66:67], -0.5, v[28:29]
	v_fma_f64 v[76:77], v[92:93], v[36:37], v[0:1]
	v_add_f64 v[36:37], v[2:3], -v[14:15]
	v_fma_f64 v[66:67], v[92:93], v[38:39], -v[12:13]
	v_add_f64 v[0:1], v[74:75], v[48:49]
	v_add_f64 v[38:39], v[42:43], v[58:59]
	v_fma_f64 v[12:13], v[36:37], s[2:3], v[28:29]
	v_fma_f64 v[28:29], v[36:37], s[8:9], v[28:29]
	v_add_f64 v[36:37], v[24:25], v[40:41]
	v_fma_f64 v[38:39], v[38:39], -0.5, v[26:27]
	s_waitcnt vmcnt(0)
	v_mul_f64 v[70:71], v[80:81], v[34:35]
	v_mul_f64 v[72:73], v[80:81], v[32:33]
	v_fma_f64 v[70:71], v[78:79], v[32:33], v[70:71]
	v_fma_f64 v[72:73], v[78:79], v[34:35], -v[72:73]
	v_add_f64 v[32:33], v[2:3], v[14:15]
	v_add_f64 v[34:35], v[40:41], v[44:45]
	;; [unrolled: 1-line block ×3, first 2 shown]
	v_add_f64 v[40:41], v[40:41], -v[44:45]
	v_add_f64 v[78:79], v[64:65], -v[62:63]
	v_fma_f64 v[30:31], v[32:33], -0.5, v[30:31]
	v_add_f64 v[32:33], v[46:47], -v[48:49]
	v_fma_f64 v[34:35], v[34:35], -0.5, v[24:25]
	v_add_f64 v[46:47], v[42:43], -v[58:59]
	v_add_f64 v[42:43], v[26:27], v[42:43]
	v_add_f64 v[48:49], v[60:61], v[52:53]
	v_add_f64 v[2:3], v[2:3], v[14:15]
	v_add_f64 v[24:25], v[36:37], v[44:45]
	v_add_f64 v[44:45], v[20:21], v[60:61]
	v_fma_f64 v[14:15], v[32:33], s[8:9], v[30:31]
	v_fma_f64 v[30:31], v[32:33], s[2:3], v[30:31]
	;; [unrolled: 1-line block ×4, first 2 shown]
	v_add_f64 v[26:27], v[42:43], v[58:59]
	v_add_f64 v[42:43], v[50:51], v[54:55]
	v_fma_f64 v[46:47], v[48:49], -0.5, v[20:21]
	v_add_f64 v[48:49], v[50:51], -v[54:55]
	v_add_f64 v[50:51], v[22:23], v[50:51]
	v_add_f64 v[60:61], v[60:61], -v[52:53]
	v_fma_f64 v[34:35], v[40:41], s[8:9], v[38:39]
	v_add_f64 v[58:59], v[56:57], v[68:69]
	v_fma_f64 v[38:39], v[40:41], s[2:3], v[38:39]
	v_fma_f64 v[74:75], v[42:43], -0.5, v[22:23]
	v_add_f64 v[20:21], v[44:45], v[52:53]
	v_fma_f64 v[40:41], v[48:49], s[2:3], v[46:47]
	v_add_f64 v[22:23], v[50:51], v[54:55]
	v_add_f64 v[50:51], v[64:65], v[62:63]
	;; [unrolled: 1-line block ×3, first 2 shown]
	v_fma_f64 v[44:45], v[48:49], s[8:9], v[46:47]
	v_add_f64 v[54:55], v[76:77], v[70:71]
	v_fma_f64 v[42:43], v[60:61], s[8:9], v[74:75]
	v_fma_f64 v[46:47], v[60:61], s[2:3], v[74:75]
	v_add_f64 v[60:61], v[18:19], v[64:65]
	v_add_f64 v[56:57], v[56:57], -v[68:69]
	v_fma_f64 v[64:65], v[50:51], -0.5, v[18:19]
	v_fma_f64 v[58:59], v[58:59], -0.5, v[16:17]
	v_add_f64 v[16:17], v[52:53], v[68:69]
	v_fma_f64 v[74:75], v[54:55], -0.5, v[8:9]
	v_add_f64 v[68:69], v[8:9], v[76:77]
	v_add_f64 v[76:77], v[76:77], -v[70:71]
	v_add_f64 v[18:19], v[60:61], v[62:63]
	v_fma_f64 v[50:51], v[56:57], s[8:9], v[64:65]
	v_fma_f64 v[54:55], v[56:57], s[2:3], v[64:65]
	buffer_load_dword v64, off, s[60:63], 0 offset:320 ; 4-byte Folded Reload
	v_fma_f64 v[48:49], v[78:79], s[2:3], v[58:59]
	v_fma_f64 v[52:53], v[78:79], s[8:9], v[58:59]
	v_add_f64 v[58:59], v[66:67], v[72:73]
	v_add_f64 v[78:79], v[66:67], -v[72:73]
	v_add_f64 v[66:67], v[10:11], v[66:67]
	v_add_f64 v[8:9], v[68:69], v[70:71]
	s_waitcnt vmcnt(0)
	ds_write_b128 v64, v[0:3]
	ds_write_b128 v64, v[12:15] offset:544
	ds_write_b128 v64, v[28:31] offset:1088
	buffer_load_dword v0, off, s[60:63], 0 offset:324 ; 4-byte Folded Reload
	v_fma_f64 v[80:81], v[58:59], -0.5, v[10:11]
	v_add_f64 v[10:11], v[66:67], v[72:73]
	v_fma_f64 v[56:57], v[78:79], s[2:3], v[74:75]
	v_fma_f64 v[60:61], v[78:79], s[8:9], v[74:75]
	s_waitcnt vmcnt(0)
	ds_write_b128 v0, v[24:27]
	ds_write_b128 v0, v[32:35] offset:544
	ds_write_b128 v0, v[36:39] offset:1088
	buffer_load_dword v0, off, s[60:63], 0 offset:328 ; 4-byte Folded Reload
	v_fma_f64 v[58:59], v[76:77], s[8:9], v[80:81]
	v_fma_f64 v[62:63], v[76:77], s[2:3], v[80:81]
	s_waitcnt vmcnt(0)
	ds_write_b128 v0, v[20:23]
	ds_write_b128 v0, v[40:43] offset:544
	ds_write_b128 v0, v[44:47] offset:1088
	buffer_load_dword v0, off, s[60:63], 0 offset:332 ; 4-byte Folded Reload
	s_waitcnt vmcnt(0)
	ds_write_b128 v0, v[16:19]
	ds_write_b128 v0, v[48:51] offset:544
	ds_write_b128 v0, v[52:55] offset:1088
	buffer_load_dword v0, off, s[60:63], 0 offset:340 ; 4-byte Folded Reload
	s_waitcnt vmcnt(0)
	ds_write_b128 v0, v[8:11]
	ds_write_b128 v0, v[56:59] offset:544
	ds_write_b128 v0, v[60:63] offset:1088
	s_and_saveexec_b64 s[10:11], s[0:1]
	s_cbranch_execz .LBB0_21
; %bb.20:
	buffer_load_dword v16, off, s[60:63], 0 offset:392 ; 4-byte Folded Reload
	buffer_load_dword v17, off, s[60:63], 0 offset:396 ; 4-byte Folded Reload
	buffer_load_dword v18, off, s[60:63], 0 offset:400 ; 4-byte Folded Reload
	buffer_load_dword v19, off, s[60:63], 0 offset:404 ; 4-byte Folded Reload
	buffer_load_dword v12, off, s[60:63], 0 offset:376 ; 4-byte Folded Reload
	buffer_load_dword v13, off, s[60:63], 0 offset:380 ; 4-byte Folded Reload
	buffer_load_dword v14, off, s[60:63], 0 offset:384 ; 4-byte Folded Reload
	buffer_load_dword v15, off, s[60:63], 0 offset:388 ; 4-byte Folded Reload
	buffer_load_dword v20, off, s[60:63], 0 ; 4-byte Folded Reload
	buffer_load_dword v21, off, s[60:63], 0 offset:4 ; 4-byte Folded Reload
	buffer_load_dword v22, off, s[60:63], 0 offset:8 ; 4-byte Folded Reload
	;; [unrolled: 1-line block ×3, first 2 shown]
	s_waitcnt vmcnt(8)
	v_mul_f64 v[0:1], v[18:19], v[224:225]
	s_waitcnt vmcnt(2)
	v_mul_f64 v[2:3], v[14:15], v[20:21]
	v_mul_f64 v[8:9], v[18:19], v[226:227]
	s_waitcnt vmcnt(0)
	v_mul_f64 v[10:11], v[14:15], v[22:23]
	v_fma_f64 v[0:1], v[16:17], v[226:227], -v[0:1]
	v_fma_f64 v[2:3], v[12:13], v[22:23], -v[2:3]
	v_fma_f64 v[8:9], v[16:17], v[224:225], v[8:9]
	v_fma_f64 v[10:11], v[12:13], v[20:21], v[10:11]
	v_add_f64 v[18:19], v[6:7], v[0:1]
	v_add_f64 v[12:13], v[0:1], v[2:3]
	v_add_f64 v[20:21], v[0:1], -v[2:3]
	v_add_f64 v[14:15], v[8:9], v[10:11]
	v_add_f64 v[16:17], v[8:9], -v[10:11]
	v_add_f64 v[8:9], v[4:5], v[8:9]
	v_add_f64 v[2:3], v[18:19], v[2:3]
	v_fma_f64 v[12:13], v[12:13], -0.5, v[6:7]
	v_fma_f64 v[4:5], v[14:15], -0.5, v[4:5]
	v_add_f64 v[0:1], v[8:9], v[10:11]
	v_fma_f64 v[10:11], v[16:17], s[8:9], v[12:13]
	v_fma_f64 v[6:7], v[16:17], s[2:3], v[12:13]
	;; [unrolled: 1-line block ×4, first 2 shown]
	ds_write_b128 v97, v[0:3] offset:11424
	ds_write_b128 v97, v[8:11] offset:11968
	;; [unrolled: 1-line block ×3, first 2 shown]
.LBB0_21:
	s_or_b64 exec, exec, s[10:11]
	s_waitcnt lgkmcnt(0)
	; wave barrier
	s_waitcnt lgkmcnt(0)
	ds_read_b128 v[0:3], v253
	ds_read_b128 v[4:7], v253 offset:816
	ds_read_b128 v[8:11], v253 offset:6528
	;; [unrolled: 1-line block ×15, first 2 shown]
	buffer_load_dword v80, off, s[60:63], 0 offset:344 ; 4-byte Folded Reload
	buffer_load_dword v81, off, s[60:63], 0 offset:348 ; 4-byte Folded Reload
	;; [unrolled: 1-line block ×4, first 2 shown]
	s_waitcnt lgkmcnt(13)
	v_mul_f64 v[64:65], v[86:87], v[10:11]
	v_mul_f64 v[66:67], v[86:87], v[8:9]
	s_waitcnt lgkmcnt(9)
	v_mul_f64 v[72:73], v[86:87], v[26:27]
	v_mul_f64 v[74:75], v[86:87], v[24:25]
	;; [unrolled: 1-line block ×4, first 2 shown]
	s_waitcnt lgkmcnt(8)
	v_mul_f64 v[76:77], v[90:91], v[30:31]
	v_mul_f64 v[78:79], v[90:91], v[28:29]
	v_fma_f64 v[8:9], v[84:85], v[8:9], v[64:65]
	v_fma_f64 v[10:11], v[84:85], v[10:11], -v[66:67]
	v_fma_f64 v[24:25], v[84:85], v[24:25], v[72:73]
	v_fma_f64 v[26:27], v[84:85], v[26:27], -v[74:75]
	;; [unrolled: 2-line block ×3, first 2 shown]
	s_waitcnt lgkmcnt(1)
	v_mul_f64 v[72:73], v[102:103], v[58:59]
	v_mul_f64 v[74:75], v[102:103], v[56:57]
	v_fma_f64 v[28:29], v[88:89], v[28:29], v[76:77]
	v_fma_f64 v[30:31], v[88:89], v[30:31], -v[78:79]
	v_add_f64 v[8:9], v[0:1], -v[8:9]
	v_add_f64 v[10:11], v[2:3], -v[10:11]
	;; [unrolled: 1-line block ×4, first 2 shown]
	v_fma_f64 v[56:57], v[100:101], v[56:57], v[72:73]
	v_fma_f64 v[58:59], v[100:101], v[58:59], -v[74:75]
	v_add_f64 v[24:25], v[16:17], -v[24:25]
	v_add_f64 v[26:27], v[18:19], -v[26:27]
	;; [unrolled: 1-line block ×4, first 2 shown]
	v_fma_f64 v[0:1], v[0:1], 2.0, -v[8:9]
	v_fma_f64 v[2:3], v[2:3], 2.0, -v[10:11]
	v_add_f64 v[56:57], v[48:49], -v[56:57]
	v_add_f64 v[58:59], v[50:51], -v[58:59]
	v_fma_f64 v[4:5], v[4:5], 2.0, -v[12:13]
	v_fma_f64 v[6:7], v[6:7], 2.0, -v[14:15]
	;; [unrolled: 1-line block ×8, first 2 shown]
	s_waitcnt lgkmcnt(0)
	v_mul_f64 v[76:77], v[106:107], v[62:63]
	v_mul_f64 v[78:79], v[106:107], v[60:61]
	v_fma_f64 v[60:61], v[104:105], v[60:61], v[76:77]
	v_fma_f64 v[62:63], v[104:105], v[62:63], -v[78:79]
	v_add_f64 v[60:61], v[52:53], -v[60:61]
	v_add_f64 v[62:63], v[54:55], -v[62:63]
	v_fma_f64 v[52:53], v[52:53], 2.0, -v[60:61]
	v_fma_f64 v[54:55], v[54:55], 2.0, -v[62:63]
	s_waitcnt vmcnt(0)
	v_mul_f64 v[64:65], v[82:83], v[42:43]
	v_mul_f64 v[66:67], v[82:83], v[40:41]
	buffer_load_dword v82, off, s[60:63], 0 offset:360 ; 4-byte Folded Reload
	buffer_load_dword v83, off, s[60:63], 0 offset:364 ; 4-byte Folded Reload
	;; [unrolled: 1-line block ×4, first 2 shown]
	s_waitcnt lgkmcnt(0)
	; wave barrier
	v_fma_f64 v[40:41], v[80:81], v[40:41], v[64:65]
	v_fma_f64 v[42:43], v[80:81], v[42:43], -v[66:67]
	v_add_f64 v[40:41], v[32:33], -v[40:41]
	v_add_f64 v[42:43], v[34:35], -v[42:43]
	v_fma_f64 v[32:33], v[32:33], 2.0, -v[40:41]
	v_fma_f64 v[34:35], v[34:35], 2.0, -v[42:43]
	s_waitcnt vmcnt(0)
	v_mul_f64 v[68:69], v[84:85], v[46:47]
	v_mul_f64 v[70:71], v[84:85], v[44:45]
	v_fma_f64 v[44:45], v[82:83], v[44:45], v[68:69]
	v_fma_f64 v[46:47], v[82:83], v[46:47], -v[70:71]
	v_add_f64 v[44:45], v[36:37], -v[44:45]
	v_add_f64 v[46:47], v[38:39], -v[46:47]
	v_fma_f64 v[36:37], v[36:37], 2.0, -v[44:45]
	v_fma_f64 v[38:39], v[38:39], 2.0, -v[46:47]
	ds_write_b128 v253, v[0:3]
	ds_write_b128 v253, v[8:11] offset:1632
	ds_write_b128 v253, v[4:7] offset:816
	;; [unrolled: 1-line block ×13, first 2 shown]
	buffer_load_dword v0, off, s[60:63], 0 offset:336 ; 4-byte Folded Reload
	s_waitcnt vmcnt(0)
	ds_write_b128 v0, v[52:55] offset:9792
	ds_write_b128 v0, v[60:63] offset:11424
	s_waitcnt lgkmcnt(0)
	; wave barrier
	s_waitcnt lgkmcnt(0)
	ds_read_b128 v[0:3], v253
	ds_read_b128 v[4:7], v253 offset:816
	ds_read_b128 v[8:11], v253 offset:6528
	;; [unrolled: 1-line block ×15, first 2 shown]
	s_waitcnt lgkmcnt(13)
	v_mul_f64 v[64:65], v[110:111], v[10:11]
	v_mul_f64 v[66:67], v[110:111], v[8:9]
	s_waitcnt lgkmcnt(12)
	v_mul_f64 v[68:69], v[114:115], v[14:15]
	v_mul_f64 v[70:71], v[114:115], v[12:13]
	;; [unrolled: 3-line block ×4, first 2 shown]
	v_fma_f64 v[8:9], v[108:109], v[8:9], v[64:65]
	v_fma_f64 v[10:11], v[108:109], v[10:11], -v[66:67]
	v_fma_f64 v[12:13], v[112:113], v[12:13], v[68:69]
	v_fma_f64 v[14:15], v[112:113], v[14:15], -v[70:71]
	;; [unrolled: 2-line block ×4, first 2 shown]
	s_waitcnt lgkmcnt(5)
	v_mul_f64 v[64:65], v[110:111], v[42:43]
	v_mul_f64 v[66:67], v[110:111], v[40:41]
	s_waitcnt lgkmcnt(4)
	v_mul_f64 v[68:69], v[114:115], v[46:47]
	v_mul_f64 v[70:71], v[114:115], v[44:45]
	;; [unrolled: 3-line block ×4, first 2 shown]
	v_fma_f64 v[40:41], v[108:109], v[40:41], v[64:65]
	v_fma_f64 v[42:43], v[108:109], v[42:43], -v[66:67]
	v_fma_f64 v[44:45], v[112:113], v[44:45], v[68:69]
	v_fma_f64 v[46:47], v[112:113], v[46:47], -v[70:71]
	v_fma_f64 v[56:57], v[116:117], v[56:57], v[72:73]
	v_fma_f64 v[58:59], v[116:117], v[58:59], -v[74:75]
	v_fma_f64 v[60:61], v[120:121], v[60:61], v[76:77]
	v_fma_f64 v[62:63], v[120:121], v[62:63], -v[78:79]
	v_add_f64 v[8:9], v[0:1], -v[8:9]
	v_add_f64 v[10:11], v[2:3], -v[10:11]
	;; [unrolled: 1-line block ×16, first 2 shown]
	v_fma_f64 v[0:1], v[0:1], 2.0, -v[8:9]
	v_fma_f64 v[2:3], v[2:3], 2.0, -v[10:11]
	v_fma_f64 v[4:5], v[4:5], 2.0, -v[12:13]
	v_fma_f64 v[6:7], v[6:7], 2.0, -v[14:15]
	v_fma_f64 v[16:17], v[16:17], 2.0, -v[24:25]
	v_fma_f64 v[18:19], v[18:19], 2.0, -v[26:27]
	v_fma_f64 v[20:21], v[20:21], 2.0, -v[28:29]
	v_fma_f64 v[22:23], v[22:23], 2.0, -v[30:31]
	v_fma_f64 v[32:33], v[32:33], 2.0, -v[40:41]
	v_fma_f64 v[34:35], v[34:35], 2.0, -v[42:43]
	v_fma_f64 v[36:37], v[36:37], 2.0, -v[44:45]
	v_fma_f64 v[38:39], v[38:39], 2.0, -v[46:47]
	v_fma_f64 v[48:49], v[48:49], 2.0, -v[56:57]
	v_fma_f64 v[50:51], v[50:51], 2.0, -v[58:59]
	v_fma_f64 v[52:53], v[52:53], 2.0, -v[60:61]
	v_fma_f64 v[54:55], v[54:55], 2.0, -v[62:63]
	s_waitcnt lgkmcnt(0)
	; wave barrier
	ds_write_b128 v253, v[0:3]
	ds_write_b128 v253, v[8:11] offset:3264
	ds_write_b128 v253, v[4:7] offset:816
	;; [unrolled: 1-line block ×15, first 2 shown]
	s_waitcnt lgkmcnt(0)
	; wave barrier
	s_waitcnt lgkmcnt(0)
	ds_read_b128 v[0:3], v253
	ds_read_b128 v[4:7], v253 offset:816
	ds_read_b128 v[8:11], v253 offset:6528
	;; [unrolled: 1-line block ×15, first 2 shown]
	s_waitcnt lgkmcnt(13)
	v_mul_f64 v[64:65], v[126:127], v[10:11]
	v_mul_f64 v[66:67], v[126:127], v[8:9]
	s_waitcnt lgkmcnt(12)
	v_mul_f64 v[68:69], v[130:131], v[14:15]
	v_mul_f64 v[70:71], v[130:131], v[12:13]
	;; [unrolled: 3-line block ×4, first 2 shown]
	v_fma_f64 v[8:9], v[124:125], v[8:9], v[64:65]
	v_fma_f64 v[10:11], v[124:125], v[10:11], -v[66:67]
	v_fma_f64 v[12:13], v[128:129], v[12:13], v[68:69]
	v_fma_f64 v[14:15], v[128:129], v[14:15], -v[70:71]
	;; [unrolled: 2-line block ×4, first 2 shown]
	s_waitcnt lgkmcnt(5)
	v_mul_f64 v[64:65], v[142:143], v[42:43]
	v_mul_f64 v[66:67], v[142:143], v[40:41]
	s_waitcnt lgkmcnt(4)
	v_mul_f64 v[68:69], v[146:147], v[46:47]
	v_mul_f64 v[70:71], v[146:147], v[44:45]
	;; [unrolled: 3-line block ×4, first 2 shown]
	v_fma_f64 v[40:41], v[140:141], v[40:41], v[64:65]
	v_fma_f64 v[42:43], v[140:141], v[42:43], -v[66:67]
	v_fma_f64 v[44:45], v[144:145], v[44:45], v[68:69]
	v_fma_f64 v[46:47], v[144:145], v[46:47], -v[70:71]
	;; [unrolled: 2-line block ×4, first 2 shown]
	v_add_f64 v[8:9], v[0:1], -v[8:9]
	v_add_f64 v[10:11], v[2:3], -v[10:11]
	;; [unrolled: 1-line block ×8, first 2 shown]
	v_fma_f64 v[0:1], v[0:1], 2.0, -v[8:9]
	v_fma_f64 v[2:3], v[2:3], 2.0, -v[10:11]
	v_add_f64 v[40:41], v[32:33], -v[40:41]
	v_add_f64 v[42:43], v[34:35], -v[42:43]
	;; [unrolled: 1-line block ×8, first 2 shown]
	v_fma_f64 v[4:5], v[4:5], 2.0, -v[12:13]
	v_fma_f64 v[6:7], v[6:7], 2.0, -v[14:15]
	;; [unrolled: 1-line block ×14, first 2 shown]
	ds_write_b128 v253, v[0:3]
	ds_write_b128 v253, v[8:11] offset:6528
	ds_write_b128 v253, v[4:7] offset:816
	;; [unrolled: 1-line block ×15, first 2 shown]
	s_waitcnt lgkmcnt(0)
	; wave barrier
	s_waitcnt lgkmcnt(0)
	s_and_b64 exec, exec, vcc
	s_cbranch_execz .LBB0_23
; %bb.22:
	global_load_dwordx4 v[0:3], v252, s[12:13]
	ds_read_b128 v[4:7], v253
	v_mad_u64_u32 v[12:13], s[0:1], s6, v228, 0
	v_mad_u64_u32 v[14:15], s[0:1], s4, v254, 0
	ds_read_b128 v[8:11], v252 offset:768
	ds_read_b128 v[16:19], v252 offset:12288
	s_mul_i32 s3, s5, 0x300
	v_mad_u64_u32 v[22:23], s[0:1], s7, v228, v[13:14]
	s_mul_hi_u32 s6, s4, 0x300
	s_waitcnt lgkmcnt(0)
	v_mad_u64_u32 v[23:24], s[0:1], s5, v254, v[15:16]
	s_mov_b32 s0, 0x14141414
	s_mov_b32 s1, 0x3f541414
	v_mov_b32_e32 v13, v22
	v_mov_b32_e32 v15, v23
	s_mul_i32 s2, s4, 0x300
	s_add_i32 s3, s6, s3
	v_or_b32_e32 v22, 0xc0, v254
	s_movk_i32 s9, 0x1000
	s_mul_i32 s8, s4, 0x600
	v_or_b32_e32 v28, 0x180, v254
	s_waitcnt vmcnt(0)
	v_mul_f64 v[20:21], v[6:7], v[2:3]
	v_mul_f64 v[2:3], v[4:5], v[2:3]
	v_fma_f64 v[4:5], v[4:5], v[0:1], v[20:21]
	v_fma_f64 v[2:3], v[0:1], v[6:7], -v[2:3]
	v_lshlrev_b64 v[6:7], 4, v[12:13]
	v_mov_b32_e32 v20, s15
	v_lshlrev_b64 v[12:13], 4, v[14:15]
	v_add_co_u32_e32 v24, vcc, s14, v6
	v_addc_co_u32_e32 v25, vcc, v20, v7, vcc
	v_mul_f64 v[0:1], v[4:5], s[0:1]
	v_mul_f64 v[2:3], v[2:3], s[0:1]
	v_add_co_u32_e32 v4, vcc, v24, v12
	v_addc_co_u32_e32 v5, vcc, v25, v13, vcc
	v_add_co_u32_e32 v12, vcc, s2, v4
	v_mad_u64_u32 v[20:21], s[6:7], s4, v22, 0
	global_store_dwordx4 v[4:5], v[0:3], off
	global_load_dwordx4 v[0:3], v252, s[12:13] offset:768
	s_waitcnt vmcnt(0)
	v_mul_f64 v[6:7], v[10:11], v[2:3]
	v_mul_f64 v[2:3], v[8:9], v[2:3]
	v_fma_f64 v[6:7], v[8:9], v[0:1], v[6:7]
	v_fma_f64 v[2:3], v[0:1], v[10:11], -v[2:3]
	v_mul_f64 v[0:1], v[6:7], s[0:1]
	v_mul_f64 v[2:3], v[2:3], s[0:1]
	v_mov_b32_e32 v6, s3
	v_addc_co_u32_e32 v13, vcc, v5, v6, vcc
	global_store_dwordx4 v[12:13], v[0:3], off
	global_load_dwordx4 v[0:3], v252, s[12:13] offset:1536
	ds_read_b128 v[4:7], v252 offset:1536
	ds_read_b128 v[8:11], v252 offset:2304
	s_waitcnt vmcnt(0) lgkmcnt(1)
	v_mul_f64 v[14:15], v[6:7], v[2:3]
	v_mul_f64 v[2:3], v[4:5], v[2:3]
	v_fma_f64 v[4:5], v[4:5], v[0:1], v[14:15]
	v_fma_f64 v[2:3], v[0:1], v[6:7], -v[2:3]
	v_mul_f64 v[0:1], v[4:5], s[0:1]
	v_mul_f64 v[2:3], v[2:3], s[0:1]
	v_mov_b32_e32 v5, s3
	v_add_co_u32_e32 v4, vcc, s2, v12
	v_addc_co_u32_e32 v5, vcc, v13, v5, vcc
	v_add_co_u32_e32 v12, vcc, s2, v4
	global_store_dwordx4 v[4:5], v[0:3], off
	global_load_dwordx4 v[0:3], v252, s[12:13] offset:2304
	s_waitcnt vmcnt(0) lgkmcnt(0)
	v_mul_f64 v[6:7], v[10:11], v[2:3]
	v_mul_f64 v[2:3], v[8:9], v[2:3]
	v_fma_f64 v[6:7], v[8:9], v[0:1], v[6:7]
	v_fma_f64 v[2:3], v[0:1], v[10:11], -v[2:3]
	v_mul_f64 v[0:1], v[6:7], s[0:1]
	v_mul_f64 v[2:3], v[2:3], s[0:1]
	v_mov_b32_e32 v6, s3
	v_addc_co_u32_e32 v13, vcc, v5, v6, vcc
	global_store_dwordx4 v[12:13], v[0:3], off
	global_load_dwordx4 v[0:3], v252, s[12:13] offset:3072
	ds_read_b128 v[4:7], v252 offset:3072
	ds_read_b128 v[8:11], v252 offset:3840
	s_waitcnt vmcnt(0) lgkmcnt(1)
	v_mul_f64 v[14:15], v[6:7], v[2:3]
	v_mul_f64 v[2:3], v[4:5], v[2:3]
	v_fma_f64 v[4:5], v[4:5], v[0:1], v[14:15]
	v_fma_f64 v[2:3], v[0:1], v[6:7], -v[2:3]
	v_mov_b32_e32 v0, v21
	v_mad_u64_u32 v[6:7], s[6:7], s5, v22, v[0:1]
	s_mul_i32 s6, s5, 0x600
	s_mul_hi_u32 s7, s4, 0x600
	v_mov_b32_e32 v21, v6
	v_mul_f64 v[0:1], v[4:5], s[0:1]
	v_mul_f64 v[2:3], v[2:3], s[0:1]
	v_lshlrev_b64 v[4:5], 4, v[20:21]
	v_mov_b32_e32 v6, s13
	v_add_co_u32_e32 v4, vcc, v24, v4
	v_addc_co_u32_e32 v5, vcc, v25, v5, vcc
	v_add_co_u32_e32 v26, vcc, s12, v252
	global_store_dwordx4 v[4:5], v[0:3], off
	global_load_dwordx4 v[0:3], v252, s[12:13] offset:3840
	v_addc_co_u32_e32 v27, vcc, 0, v6, vcc
	v_add_co_u32_e32 v14, vcc, s9, v26
	s_add_i32 s10, s7, s6
	v_addc_co_u32_e32 v15, vcc, 0, v27, vcc
	v_mov_b32_e32 v6, s10
	v_add_co_u32_e32 v12, vcc, s8, v12
	v_addc_co_u32_e32 v13, vcc, v13, v6, vcc
	v_mad_u64_u32 v[22:23], s[6:7], s4, v28, 0
	s_waitcnt vmcnt(0) lgkmcnt(0)
	v_mul_f64 v[4:5], v[10:11], v[2:3]
	v_mul_f64 v[2:3], v[8:9], v[2:3]
	v_fma_f64 v[4:5], v[8:9], v[0:1], v[4:5]
	v_fma_f64 v[2:3], v[0:1], v[10:11], -v[2:3]
	v_mul_f64 v[0:1], v[4:5], s[0:1]
	v_mul_f64 v[2:3], v[2:3], s[0:1]
	global_store_dwordx4 v[12:13], v[0:3], off
	global_load_dwordx4 v[0:3], v[14:15], off offset:512
	ds_read_b128 v[4:7], v252 offset:4608
	ds_read_b128 v[8:11], v252 offset:5376
	s_waitcnt vmcnt(0) lgkmcnt(1)
	v_mul_f64 v[20:21], v[6:7], v[2:3]
	v_mul_f64 v[2:3], v[4:5], v[2:3]
	v_fma_f64 v[4:5], v[4:5], v[0:1], v[20:21]
	v_fma_f64 v[2:3], v[0:1], v[6:7], -v[2:3]
	v_mul_f64 v[0:1], v[4:5], s[0:1]
	v_mul_f64 v[2:3], v[2:3], s[0:1]
	v_mov_b32_e32 v5, s3
	v_add_co_u32_e32 v4, vcc, s2, v12
	v_addc_co_u32_e32 v5, vcc, v13, v5, vcc
	v_add_co_u32_e32 v12, vcc, s2, v4
	global_store_dwordx4 v[4:5], v[0:3], off
	global_load_dwordx4 v[0:3], v[14:15], off offset:1280
	s_waitcnt vmcnt(0) lgkmcnt(0)
	v_mul_f64 v[6:7], v[10:11], v[2:3]
	v_mul_f64 v[2:3], v[8:9], v[2:3]
	v_fma_f64 v[6:7], v[8:9], v[0:1], v[6:7]
	v_fma_f64 v[2:3], v[0:1], v[10:11], -v[2:3]
	v_mul_f64 v[0:1], v[6:7], s[0:1]
	v_mul_f64 v[2:3], v[2:3], s[0:1]
	v_mov_b32_e32 v7, s3
	v_addc_co_u32_e32 v13, vcc, v5, v7, vcc
	v_lshlrev_b32_e32 v6, 4, v28
	global_store_dwordx4 v[12:13], v[0:3], off
	global_load_dwordx4 v[0:3], v6, s[12:13]
	ds_read_b128 v[4:7], v252 offset:6144
	ds_read_b128 v[8:11], v252 offset:6912
	s_waitcnt vmcnt(0) lgkmcnt(1)
	v_mul_f64 v[20:21], v[6:7], v[2:3]
	v_mul_f64 v[2:3], v[4:5], v[2:3]
	v_fma_f64 v[4:5], v[4:5], v[0:1], v[20:21]
	v_fma_f64 v[2:3], v[0:1], v[6:7], -v[2:3]
	v_mov_b32_e32 v0, v23
	v_mad_u64_u32 v[6:7], s[6:7], s5, v28, v[0:1]
	s_movk_i32 s6, 0x2000
	v_mov_b32_e32 v23, v6
	v_mul_f64 v[0:1], v[4:5], s[0:1]
	v_mul_f64 v[2:3], v[2:3], s[0:1]
	v_lshlrev_b64 v[4:5], 4, v[22:23]
	v_add_co_u32_e32 v4, vcc, v24, v4
	v_addc_co_u32_e32 v5, vcc, v25, v5, vcc
	v_add_co_u32_e32 v12, vcc, s8, v12
	global_store_dwordx4 v[4:5], v[0:3], off
	global_load_dwordx4 v[0:3], v[14:15], off offset:2816
	s_waitcnt vmcnt(0) lgkmcnt(0)
	v_mul_f64 v[4:5], v[10:11], v[2:3]
	v_mul_f64 v[2:3], v[8:9], v[2:3]
	v_fma_f64 v[4:5], v[8:9], v[0:1], v[4:5]
	v_fma_f64 v[2:3], v[0:1], v[10:11], -v[2:3]
	v_mul_f64 v[0:1], v[4:5], s[0:1]
	v_mul_f64 v[2:3], v[2:3], s[0:1]
	v_mov_b32_e32 v4, s10
	v_addc_co_u32_e32 v13, vcc, v13, v4, vcc
	global_store_dwordx4 v[12:13], v[0:3], off
	global_load_dwordx4 v[0:3], v[14:15], off offset:3584
	ds_read_b128 v[4:7], v252 offset:7680
	ds_read_b128 v[8:11], v252 offset:8448
	s_waitcnt vmcnt(0) lgkmcnt(1)
	v_mul_f64 v[14:15], v[6:7], v[2:3]
	v_mul_f64 v[2:3], v[4:5], v[2:3]
	v_fma_f64 v[4:5], v[4:5], v[0:1], v[14:15]
	v_fma_f64 v[2:3], v[0:1], v[6:7], -v[2:3]
	v_add_co_u32_e32 v14, vcc, s6, v26
	v_addc_co_u32_e32 v15, vcc, 0, v27, vcc
	v_mov_b32_e32 v6, s3
	v_or_b32_e32 v26, 0x240, v254
	v_mul_f64 v[0:1], v[4:5], s[0:1]
	v_mul_f64 v[2:3], v[2:3], s[0:1]
	v_add_co_u32_e32 v4, vcc, s2, v12
	v_addc_co_u32_e32 v5, vcc, v13, v6, vcc
	v_add_co_u32_e32 v12, vcc, s2, v4
	v_mad_u64_u32 v[22:23], s[6:7], s4, v26, 0
	global_store_dwordx4 v[4:5], v[0:3], off
	global_load_dwordx4 v[0:3], v[14:15], off offset:256
	s_waitcnt vmcnt(0) lgkmcnt(0)
	v_mul_f64 v[6:7], v[10:11], v[2:3]
	v_mul_f64 v[2:3], v[8:9], v[2:3]
	v_fma_f64 v[6:7], v[8:9], v[0:1], v[6:7]
	v_fma_f64 v[2:3], v[0:1], v[10:11], -v[2:3]
	v_mul_f64 v[0:1], v[6:7], s[0:1]
	v_mul_f64 v[2:3], v[2:3], s[0:1]
	v_mov_b32_e32 v7, s3
	v_addc_co_u32_e32 v13, vcc, v5, v7, vcc
	v_lshlrev_b32_e32 v6, 4, v26
	global_store_dwordx4 v[12:13], v[0:3], off
	global_load_dwordx4 v[0:3], v6, s[12:13]
	ds_read_b128 v[4:7], v252 offset:9216
	ds_read_b128 v[8:11], v252 offset:9984
	s_waitcnt vmcnt(0) lgkmcnt(1)
	v_mul_f64 v[20:21], v[6:7], v[2:3]
	v_mul_f64 v[2:3], v[4:5], v[2:3]
	v_fma_f64 v[4:5], v[4:5], v[0:1], v[20:21]
	v_fma_f64 v[2:3], v[0:1], v[6:7], -v[2:3]
	v_mov_b32_e32 v0, v23
	v_mad_u64_u32 v[6:7], s[6:7], s5, v26, v[0:1]
	v_mov_b32_e32 v23, v6
	v_mul_f64 v[0:1], v[4:5], s[0:1]
	v_mul_f64 v[2:3], v[2:3], s[0:1]
	v_lshlrev_b64 v[4:5], 4, v[22:23]
	v_add_co_u32_e32 v4, vcc, v24, v4
	v_addc_co_u32_e32 v5, vcc, v25, v5, vcc
	v_add_co_u32_e32 v12, vcc, s8, v12
	global_store_dwordx4 v[4:5], v[0:3], off
	global_load_dwordx4 v[0:3], v[14:15], off offset:1792
	s_waitcnt vmcnt(0) lgkmcnt(0)
	v_mul_f64 v[4:5], v[10:11], v[2:3]
	v_mul_f64 v[2:3], v[8:9], v[2:3]
	v_fma_f64 v[4:5], v[8:9], v[0:1], v[4:5]
	v_fma_f64 v[2:3], v[0:1], v[10:11], -v[2:3]
	v_mul_f64 v[0:1], v[4:5], s[0:1]
	v_mul_f64 v[2:3], v[2:3], s[0:1]
	v_mov_b32_e32 v4, s10
	v_addc_co_u32_e32 v13, vcc, v13, v4, vcc
	global_store_dwordx4 v[12:13], v[0:3], off
	global_load_dwordx4 v[0:3], v[14:15], off offset:2560
	ds_read_b128 v[4:7], v252 offset:10752
	ds_read_b128 v[8:11], v252 offset:11520
	s_waitcnt vmcnt(0) lgkmcnt(1)
	v_mul_f64 v[20:21], v[6:7], v[2:3]
	v_mul_f64 v[2:3], v[4:5], v[2:3]
	v_fma_f64 v[4:5], v[4:5], v[0:1], v[20:21]
	v_fma_f64 v[2:3], v[0:1], v[6:7], -v[2:3]
	v_mul_f64 v[0:1], v[4:5], s[0:1]
	v_mul_f64 v[2:3], v[2:3], s[0:1]
	v_mov_b32_e32 v5, s3
	v_add_co_u32_e32 v4, vcc, s2, v12
	v_addc_co_u32_e32 v5, vcc, v13, v5, vcc
	global_store_dwordx4 v[4:5], v[0:3], off
	global_load_dwordx4 v[0:3], v[14:15], off offset:3328
	v_add_co_u32_e32 v4, vcc, s2, v4
	s_waitcnt vmcnt(0) lgkmcnt(0)
	v_mul_f64 v[6:7], v[10:11], v[2:3]
	v_mul_f64 v[2:3], v[8:9], v[2:3]
	v_fma_f64 v[6:7], v[8:9], v[0:1], v[6:7]
	v_fma_f64 v[2:3], v[0:1], v[10:11], -v[2:3]
	v_or_b32_e32 v8, 0x300, v254
	v_mul_f64 v[0:1], v[6:7], s[0:1]
	v_mul_f64 v[2:3], v[2:3], s[0:1]
	v_mov_b32_e32 v7, s3
	v_addc_co_u32_e32 v5, vcc, v5, v7, vcc
	v_lshlrev_b32_e32 v6, 4, v8
	global_store_dwordx4 v[4:5], v[0:3], off
	global_load_dwordx4 v[0:3], v6, s[12:13]
	v_mad_u64_u32 v[6:7], s[2:3], s4, v8, 0
	s_waitcnt vmcnt(0)
	v_mul_f64 v[4:5], v[18:19], v[2:3]
	v_mul_f64 v[2:3], v[16:17], v[2:3]
	v_fma_f64 v[4:5], v[16:17], v[0:1], v[4:5]
	v_fma_f64 v[2:3], v[0:1], v[18:19], -v[2:3]
	v_mov_b32_e32 v0, v7
	v_mad_u64_u32 v[7:8], s[2:3], s5, v8, v[0:1]
	v_mul_f64 v[0:1], v[4:5], s[0:1]
	v_mul_f64 v[2:3], v[2:3], s[0:1]
	v_lshlrev_b64 v[4:5], 4, v[6:7]
	v_add_co_u32_e32 v4, vcc, v24, v4
	v_addc_co_u32_e32 v5, vcc, v25, v5, vcc
	global_store_dwordx4 v[4:5], v[0:3], off
.LBB0_23:
	s_endpgm
	.section	.rodata,"a",@progbits
	.p2align	6, 0x0
	.amdhsa_kernel bluestein_single_fwd_len816_dim1_dp_op_CI_CI
		.amdhsa_group_segment_fixed_size 13056
		.amdhsa_private_segment_fixed_size 688
		.amdhsa_kernarg_size 104
		.amdhsa_user_sgpr_count 6
		.amdhsa_user_sgpr_private_segment_buffer 1
		.amdhsa_user_sgpr_dispatch_ptr 0
		.amdhsa_user_sgpr_queue_ptr 0
		.amdhsa_user_sgpr_kernarg_segment_ptr 1
		.amdhsa_user_sgpr_dispatch_id 0
		.amdhsa_user_sgpr_flat_scratch_init 0
		.amdhsa_user_sgpr_private_segment_size 0
		.amdhsa_uses_dynamic_stack 0
		.amdhsa_system_sgpr_private_segment_wavefront_offset 1
		.amdhsa_system_sgpr_workgroup_id_x 1
		.amdhsa_system_sgpr_workgroup_id_y 0
		.amdhsa_system_sgpr_workgroup_id_z 0
		.amdhsa_system_sgpr_workgroup_info 0
		.amdhsa_system_vgpr_workitem_id 0
		.amdhsa_next_free_vgpr 256
		.amdhsa_next_free_sgpr 64
		.amdhsa_reserve_vcc 1
		.amdhsa_reserve_flat_scratch 0
		.amdhsa_float_round_mode_32 0
		.amdhsa_float_round_mode_16_64 0
		.amdhsa_float_denorm_mode_32 3
		.amdhsa_float_denorm_mode_16_64 3
		.amdhsa_dx10_clamp 1
		.amdhsa_ieee_mode 1
		.amdhsa_fp16_overflow 0
		.amdhsa_exception_fp_ieee_invalid_op 0
		.amdhsa_exception_fp_denorm_src 0
		.amdhsa_exception_fp_ieee_div_zero 0
		.amdhsa_exception_fp_ieee_overflow 0
		.amdhsa_exception_fp_ieee_underflow 0
		.amdhsa_exception_fp_ieee_inexact 0
		.amdhsa_exception_int_div_zero 0
	.end_amdhsa_kernel
	.text
.Lfunc_end0:
	.size	bluestein_single_fwd_len816_dim1_dp_op_CI_CI, .Lfunc_end0-bluestein_single_fwd_len816_dim1_dp_op_CI_CI
                                        ; -- End function
	.section	.AMDGPU.csdata,"",@progbits
; Kernel info:
; codeLenInByte = 31672
; NumSgprs: 68
; NumVgprs: 256
; ScratchSize: 688
; MemoryBound: 0
; FloatMode: 240
; IeeeMode: 1
; LDSByteSize: 13056 bytes/workgroup (compile time only)
; SGPRBlocks: 8
; VGPRBlocks: 63
; NumSGPRsForWavesPerEU: 68
; NumVGPRsForWavesPerEU: 256
; Occupancy: 1
; WaveLimiterHint : 1
; COMPUTE_PGM_RSRC2:SCRATCH_EN: 1
; COMPUTE_PGM_RSRC2:USER_SGPR: 6
; COMPUTE_PGM_RSRC2:TRAP_HANDLER: 0
; COMPUTE_PGM_RSRC2:TGID_X_EN: 1
; COMPUTE_PGM_RSRC2:TGID_Y_EN: 0
; COMPUTE_PGM_RSRC2:TGID_Z_EN: 0
; COMPUTE_PGM_RSRC2:TIDIG_COMP_CNT: 0
	.type	__hip_cuid_6947e4d27944135c,@object ; @__hip_cuid_6947e4d27944135c
	.section	.bss,"aw",@nobits
	.globl	__hip_cuid_6947e4d27944135c
__hip_cuid_6947e4d27944135c:
	.byte	0                               ; 0x0
	.size	__hip_cuid_6947e4d27944135c, 1

	.ident	"AMD clang version 19.0.0git (https://github.com/RadeonOpenCompute/llvm-project roc-6.4.0 25133 c7fe45cf4b819c5991fe208aaa96edf142730f1d)"
	.section	".note.GNU-stack","",@progbits
	.addrsig
	.addrsig_sym __hip_cuid_6947e4d27944135c
	.amdgpu_metadata
---
amdhsa.kernels:
  - .args:
      - .actual_access:  read_only
        .address_space:  global
        .offset:         0
        .size:           8
        .value_kind:     global_buffer
      - .actual_access:  read_only
        .address_space:  global
        .offset:         8
        .size:           8
        .value_kind:     global_buffer
      - .actual_access:  read_only
        .address_space:  global
        .offset:         16
        .size:           8
        .value_kind:     global_buffer
      - .actual_access:  read_only
        .address_space:  global
        .offset:         24
        .size:           8
        .value_kind:     global_buffer
      - .actual_access:  read_only
        .address_space:  global
        .offset:         32
        .size:           8
        .value_kind:     global_buffer
      - .offset:         40
        .size:           8
        .value_kind:     by_value
      - .address_space:  global
        .offset:         48
        .size:           8
        .value_kind:     global_buffer
      - .address_space:  global
        .offset:         56
        .size:           8
        .value_kind:     global_buffer
      - .address_space:  global
        .offset:         64
        .size:           8
        .value_kind:     global_buffer
      - .address_space:  global
        .offset:         72
        .size:           8
        .value_kind:     global_buffer
      - .offset:         80
        .size:           4
        .value_kind:     by_value
      - .address_space:  global
        .offset:         88
        .size:           8
        .value_kind:     global_buffer
      - .address_space:  global
        .offset:         96
        .size:           8
        .value_kind:     global_buffer
    .group_segment_fixed_size: 13056
    .kernarg_segment_align: 8
    .kernarg_segment_size: 104
    .language:       OpenCL C
    .language_version:
      - 2
      - 0
    .max_flat_workgroup_size: 51
    .name:           bluestein_single_fwd_len816_dim1_dp_op_CI_CI
    .private_segment_fixed_size: 688
    .sgpr_count:     68
    .sgpr_spill_count: 0
    .symbol:         bluestein_single_fwd_len816_dim1_dp_op_CI_CI.kd
    .uniform_work_group_size: 1
    .uses_dynamic_stack: false
    .vgpr_count:     256
    .vgpr_spill_count: 175
    .wavefront_size: 64
amdhsa.target:   amdgcn-amd-amdhsa--gfx906
amdhsa.version:
  - 1
  - 2
...

	.end_amdgpu_metadata
